;; amdgpu-corpus repo=ROCm/aiter kind=harvested arch=n/a opt=n/a

/root/src/amdgpu-assembly/repos/ROCm__aiter/hsa/gfx950/fmoe/gelu/fmoe_fp16_pertokenInt8_g1u1_vs_gelu_1tg_ps_32x384.co:	file format elf64-amdgpu

Disassembly of section .text:

0000000000002e00 <_ZN5aiter49fmoe_fp16_pertokenInt8_g1u1_vs_gelu_1tg_ps_32x384E>:
	v_lshrrev_b32_e32 v1, 10, v0                               // 000000002E00: 2002008A
	v_lshrrev_b32_e32 v2, 10, v1                               // 000000002E04: 2004028A
	v_and_b32_e32 v2, 0x3ff, v2                                // 000000002E08: 260404FF 000003FF
	v_and_b32_e32 v1, 0x3ff, v1                                // 000000002E10: 260202FF 000003FF
	v_and_b32_e32 v0, 0x3ff, v0                                // 000000002E18: 260000FF 000003FF
	v_lshrrev_b32_e32 v3, 6, v0                                // 000000002E20: 20060086
	v_and_b32_e32 v0, 63, v0                                   // 000000002E24: 260000BF
	s_mov_b32 s2, s2                                           // 000000002E28: BE820002
	s_mov_b32 s3, s3                                           // 000000002E2C: BE830003
	s_mov_b32 s4, s4                                           // 000000002E30: BE840004
	s_mov_b32 s99, s2                                          // 000000002E34: BEE30002
	v_readfirstlane_b32 s7, v3                                 // 000000002E38: 7E0E0503
	s_and_b32 s1, s1, 0xffff                                   // 000000002E3C: 8601FF01 0000FFFF
	s_mov_b32 s96, 0                                           // 000000002E44: BEE00080
	s_mov_b32 s97, 0                                           // 000000002E48: BEE10080
	s_mov_b32 s100, 0                                          // 000000002E4C: BEE40080
	s_load_dword s96, s[0:1], 0x1a0                            // 000000002E50: C0021800 000001A0
	s_load_dword s97, s[0:1], 0x1b0                            // 000000002E58: C0021840 000001B0
	s_waitcnt lgkmcnt(0)                                       // 000000002E60: BF8CC07F
	s_cmp_eq_u32 s96, 0                                        // 000000002E64: BF068060
	s_cbranch_scc1 label_005C                                  // 000000002E68: BF850041
	v_cvt_f32_u32_e32 v50, s97                                 // 000000002E6C: 7E640C61
	s_sub_i32 s60, 0, s97                                      // 000000002E70: 81BC6180
	v_rcp_iflag_f32_e32 v50, v50                               // 000000002E74: 7E644732
	s_nop 0                                                    // 000000002E78: BF800000
	v_mul_f32_e32 v50, 0x4f7ffffe, v50                         // 000000002E7C: 0A6464FF 4F7FFFFE
	v_cvt_u32_f32_e32 v50, v50                                 // 000000002E84: 7E640F32
	v_mul_lo_u32 v51, s60, v50                                 // 000000002E88: D2850033 0002643C
	v_mul_hi_u32 v51, v50, v51                                 // 000000002E90: D2860033 00026732
	v_add_u32_e32 v50, v50, v51                                // 000000002E98: 68646732
	v_mul_hi_u32 v50, s96, v50                                 // 000000002E9C: D2860032 00026460
	v_mul_lo_u32 v51, v50, s97                                 // 000000002EA4: D2850033 0000C332
	v_sub_u32_e32 v53, s96, v51                                // 000000002EAC: 6A6A6660
	v_add_u32_e32 v52, 1, v50                                  // 000000002EB0: 68686481
	v_cmp_le_u32_e32 vcc, s97, v53                             // 000000002EB4: 7D966A61
	v_subrev_u32_e32 v51, s97, v53                             // 000000002EB8: 6C666A61
	s_nop 0                                                    // 000000002EBC: BF800000
	v_cndmask_b32_e32 v50, v50, v52, vcc                       // 000000002EC0: 00646932
	v_cndmask_b32_e32 v53, v53, v51, vcc                       // 000000002EC4: 006A6735
	v_add_u32_e32 v51, 1, v50                                  // 000000002EC8: 68666481
	v_cmp_le_u32_e32 vcc, s97, v53                             // 000000002ECC: 7D966A61
	s_nop 1                                                    // 000000002ED0: BF800001
	v_cndmask_b32_e32 v53, v50, v51, vcc                       // 000000002ED4: 006A6732
	s_nop 3                                                    // 000000002ED8: BF800003
	v_readfirstlane_b32 s98, v53                               // 000000002EDC: 7EC40535
	s_nop 3                                                    // 000000002EE0: BF800003

0000000000002ee4 <label_0039>:
	s_mov_b32 s4, 0                                            // 000000002EE4: BE840080
	v_cvt_f32_u32_e32 v50, s97                                 // 000000002EE8: 7E640C61
	s_sub_i32 s60, 0, s97                                      // 000000002EEC: 81BC6180
	v_rcp_iflag_f32_e32 v50, v50                               // 000000002EF0: 7E644732
	s_nop 0                                                    // 000000002EF4: BF800000
	v_mul_f32_e32 v50, 0x4f7ffffe, v50                         // 000000002EF8: 0A6464FF 4F7FFFFE
	v_cvt_u32_f32_e32 v50, v50                                 // 000000002F00: 7E640F32
	v_mul_lo_u32 v51, s60, v50                                 // 000000002F04: D2850033 0002643C
	v_mul_hi_u32 v51, v50, v51                                 // 000000002F0C: D2860033 00026732
	v_add_u32_e32 v50, v50, v51                                // 000000002F14: 68646732
	v_mul_hi_u32 v50, s99, v50                                 // 000000002F18: D2860032 00026463
	v_mul_lo_u32 v51, v50, s97                                 // 000000002F20: D2850033 0000C332
	v_sub_u32_e32 v53, s99, v51                                // 000000002F28: 6A6A6663
	v_add_u32_e32 v52, 1, v50                                  // 000000002F2C: 68686481
	v_cmp_le_u32_e32 vcc, s97, v53                             // 000000002F30: 7D966A61
	v_subrev_u32_e32 v51, s97, v53                             // 000000002F34: 6C666A61
	s_nop 0                                                    // 000000002F38: BF800000
	v_cndmask_b32_e32 v50, v50, v52, vcc                       // 000000002F3C: 00646932
	v_cndmask_b32_e32 v53, v53, v51, vcc                       // 000000002F40: 006A6735
	v_add_u32_e32 v51, 1, v50                                  // 000000002F44: 68666481
	v_cmp_le_u32_e32 vcc, s97, v53                             // 000000002F48: 7D966A61
	s_nop 1                                                    // 000000002F4C: BF800001
	v_cndmask_b32_e32 v53, v50, v51, vcc                       // 000000002F50: 006A6732
	s_nop 3                                                    // 000000002F54: BF800003
	v_readfirstlane_b32 s3, v53                                // 000000002F58: 7E060535
	s_nop 3                                                    // 000000002F5C: BF800003
	s_mul_i32 s60, s3, s97                                     // 000000002F60: 923C6103
	s_sub_u32 s2, s99, s60                                     // 000000002F64: 80823C63
	s_mul_i32 s60, s98, s100                                   // 000000002F68: 923C6462
	s_add_i32 s3, s3, s60                                      // 000000002F6C: 81033C03

0000000000002f70 <label_005C>:
	s_and_b32 s1, s1, 0xffff                                   // 000000002F70: 8601FF01 0000FFFF
	s_load_dwordx2 s[8:9], s[0:1], 0x0                         // 000000002F78: C0060200 00000000
	s_load_dwordx2 s[20:21], s[0:1], 0x10                      // 000000002F80: C0060500 00000010
	s_load_dwordx2 s[24:25], s[0:1], 0x20                      // 000000002F88: C0060600 00000020
	s_load_dwordx2 s[50:51], s[0:1], 0x30                      // 000000002F90: C0060C80 00000030
	s_load_dwordx2 s[12:13], s[0:1], 0x40                      // 000000002F98: C0060300 00000040
	s_load_dwordx2 s[28:29], s[0:1], 0x50                      // 000000002FA0: C0060700 00000050
	s_load_dwordx2 s[32:33], s[0:1], 0x60                      // 000000002FA8: C0060800 00000060
	s_load_dwordx2 s[16:17], s[0:1], 0x70                      // 000000002FB0: C0060400 00000070
	s_load_dwordx2 s[36:37], s[0:1], 0x80                      // 000000002FB8: C0060900 00000080
	s_load_dwordx2 s[44:45], s[0:1], 0x90                      // 000000002FC0: C0060B00 00000090
	s_load_dwordx2 s[40:41], s[0:1], 0xa0                      // 000000002FC8: C0060A00 000000A0
	s_load_dwordx2 s[46:47], s[0:1], 0xb0                      // 000000002FD0: C0060B80 000000B0
	s_load_dword s64, s[0:1], 0xc0                             // 000000002FD8: C0021000 000000C0
	s_load_dword s65, s[0:1], 0xd0                             // 000000002FE0: C0021040 000000D0
	s_load_dword s67, s[0:1], 0xf0                             // 000000002FE8: C00210C0 000000F0
	s_load_dword s68, s[0:1], 0x100                            // 000000002FF0: C0021100 00000100
	s_load_dword s69, s[0:1], 0x110                            // 000000002FF8: C0021140 00000110
	s_load_dword s70, s[0:1], 0x120                            // 000000003000: C0021180 00000120
	s_load_dword s71, s[0:1], 0x130                            // 000000003008: C00211C0 00000130
	s_load_dword s72, s[0:1], 0x140                            // 000000003010: C0021200 00000140
	s_load_dword s73, s[0:1], 0x150                            // 000000003018: C0021240 00000150
	s_load_dword s74, s[0:1], 0x160                            // 000000003020: C0021280 00000160
	s_load_dword s75, s[0:1], 0x170                            // 000000003028: C00212C0 00000170
	s_load_dword s76, s[0:1], 0x180                            // 000000003030: C0021300 00000180
	s_mov_b32 s2, s2                                           // 000000003038: BE820002
	s_mov_b32 s3, s3                                           // 00000000303C: BE830003
	s_mov_b32 s4, s4                                           // 000000003040: BE840004
	s_waitcnt lgkmcnt(0)                                       // 000000003044: BF8CC07F
	s_and_b32 s51, s51, 0xffff                                 // 000000003048: 8633FF33 0000FFFF
	s_load_dword s66, s[50:51], 0x4                            // 000000003050: C0021099 00000004
	s_load_dword s50, s[50:51], 0x0                            // 000000003058: C0020C99 00000000
	s_waitcnt lgkmcnt(0)                                       // 000000003060: BF8CC07F
	s_and_b32 s45, s45, 0xffff                                 // 000000003064: 862DFF2D 0000FFFF
	s_and_b32 s47, s47, 0xffff                                 // 00000000306C: 862FFF2F 0000FFFF
	s_and_b32 s9, s9, 0xffff                                   // 000000003074: 8609FF09 0000FFFF
	s_mul_i32 s60, s66, s68                                    // 00000000307C: 923C4442
	s_mul_i32 s61, s66, 4                                      // 000000003080: 923D8442
	s_mov_b32 s22, s60                                         // 000000003084: BE96003C
	s_mov_b32 s26, -16                                         // 000000003088: BE9A00D0
	s_mov_b32 s14, -16                                         // 00000000308C: BE8E00D0
	s_mov_b32 s42, -16                                         // 000000003090: BEAA00D0
	s_mov_b32 s30, s61                                         // 000000003094: BE9E003D
	s_mov_b32 s34, 0x600                                       // 000000003098: BEA200FF 00000600
	s_mov_b32 s38, 0x600                                       // 0000000030A0: BEA600FF 00000600
	s_mov_b32 s18, -16                                         // 0000000030A8: BE9200D0
	s_mov_b32 s23, 0x20000                                     // 0000000030AC: BE9700FF 00020000
	s_mov_b32 s27, 0x20000                                     // 0000000030B4: BE9B00FF 00020000
	s_mov_b32 s15, 0x20000                                     // 0000000030BC: BE8F00FF 00020000
	s_mov_b32 s43, 0x20000                                     // 0000000030C4: BEAB00FF 00020000
	s_mov_b32 s31, 0x20000                                     // 0000000030CC: BE9F00FF 00020000
	s_mov_b32 s35, 0x20000                                     // 0000000030D4: BEA300FF 00020000
	s_mov_b32 s39, 0x20000                                     // 0000000030DC: BEA700FF 00020000
	s_mov_b32 s19, 0x20000                                     // 0000000030E4: BE9300FF 00020000
	s_and_b32 s21, s21, 0xffff                                 // 0000000030EC: 8615FF15 0000FFFF
	s_and_b32 s25, s25, 0xffff                                 // 0000000030F4: 8619FF19 0000FFFF
	s_and_b32 s13, s13, 0xffff                                 // 0000000030FC: 860DFF0D 0000FFFF
	s_and_b32 s41, s41, 0xffff                                 // 000000003104: 8629FF29 0000FFFF
	s_and_b32 s29, s29, 0xffff                                 // 00000000310C: 861DFF1D 0000FFFF
	s_and_b32 s33, s33, 0xffff                                 // 000000003114: 8621FF21 0000FFFF
	s_and_b32 s37, s37, 0xffff                                 // 00000000311C: 8625FF25 0000FFFF
	s_and_b32 s17, s17, 0xffff                                 // 000000003124: 8611FF11 0000FFFF
	s_or_b32 s21, s21, 0x40000                                 // 00000000312C: 8715FF15 00040000
	s_or_b32 s25, s25, 0x40000                                 // 000000003134: 8719FF19 00040000
	s_or_b32 s13, s13, 0x40000                                 // 00000000313C: 870DFF0D 00040000
	s_or_b32 s41, s41, 0x40000                                 // 000000003144: 8729FF29 00040000
	s_or_b32 s29, s29, 0x40000                                 // 00000000314C: 871DFF1D 00040000
	s_or_b32 s33, s33, 0x40000                                 // 000000003154: 8721FF21 00040000
	s_or_b32 s37, s37, 0x40000                                 // 00000000315C: 8725FF25 00040000
	s_or_b32 s17, s17, 0x40000                                 // 000000003164: 8711FF11 00040000
	v_accvgpr_write_b32 a191, 0                                // 00000000316C: D3D940BF 18000080
	v_mov_b32_e32 v239, 0                                      // 000000003174: 7FDE0280
	s_waitcnt lgkmcnt(0)                                       // 000000003178: BF8CC07F
	s_mul_i32 s60, s3, 32                                      // 00000000317C: 923CA003
	s_cmp_lt_i32 s60, s50                                      // 000000003180: BF04323C
	s_cbranch_scc0 label_2023                                  // 000000003184: BF841F41
	s_mov_b32 s80, 0                                           // 000000003188: BED00080
	s_mov_b32 s81, s64                                         // 00000000318C: BED10040
	s_mul_i32 s60, s3, 4                                       // 000000003190: 923C8403
	s_add_u32 s46, s60, s46                                    // 000000003194: 802E2E3C
	s_addc_u32 s47, 0, s47                                     // 000000003198: 822F2F80
	s_load_dword s5, s[46:47], 0x0                             // 00000000319C: C0020157 00000000
	s_mul_i32 s60, s3, 32                                      // 0000000031A4: 923CA003
	s_mul_i32 s60, 4, s60                                      // 0000000031A8: 923C3C84
	v_and_b32_e32 v50, 15, v0                                  // 0000000031AC: 2664008F
	v_lshlrev_b32_e32 v50, 2, v50                              // 0000000031B0: 24646482
	v_add_u32_e32 v50, s60, v50                                // 0000000031B4: 6864643C
	v_mov_b32_e32 v51, 0                                       // 0000000031B8: 7E660280
	global_load_dword v6, v50, s[44:45]                        // 0000000031BC: DC508000 062C0032
	v_add_u32_e32 v50, 64, v50                                 // 0000000031C4: 686464C0
	global_load_dword v7, v50, s[44:45]                        // 0000000031C8: DC508000 072C0032
	s_mul_i32 s60, s3, 32                                      // 0000000031D0: 923CA003
	s_add_u32 s60, s7, s60                                     // 0000000031D4: 803C3C07
	s_mul_i32 s60, 4, s60                                      // 0000000031D8: 923C3C84
	s_add_u32 s44, s60, s44                                    // 0000000031DC: 802C2C3C
	s_addc_u32 s45, 0, s45                                     // 0000000031E0: 822D2D80
	s_load_dword s82, s[44:45], 0x0                            // 0000000031E4: C0021496 00000000
	s_load_dword s83, s[44:45], 0x10                           // 0000000031EC: C00214D6 00000010
	s_load_dword s84, s[44:45], 0x20                           // 0000000031F4: C0021516 00000020
	s_load_dword s85, s[44:45], 0x30                           // 0000000031FC: C0021556 00000030
	s_load_dword s86, s[44:45], 0x40                           // 000000003204: C0021596 00000040
	s_load_dword s87, s[44:45], 0x50                           // 00000000320C: C00215D6 00000050
	s_load_dword s88, s[44:45], 0x60                           // 000000003214: C0021616 00000060
	s_load_dword s89, s[44:45], 0x70                           // 00000000321C: C0021656 00000070
	s_waitcnt lgkmcnt(0)                                       // 000000003224: BF8CC07F
	v_lshlrev_b32_e32 v50, 2, v0                               // 000000003228: 24640082
	s_and_b32 s82, s82, 0xffffff                               // 00000000322C: 8652FF52 00FFFFFF
	s_mul_i32 s60, s82, s68                                    // 000000003234: 923C4452
	v_add_u32_e64 v26, v50, s60                                // 000000003238: D134001A 00007932
	s_and_b32 s83, s83, 0xffffff                               // 000000003240: 8653FF53 00FFFFFF
	s_mul_i32 s60, s83, s68                                    // 000000003248: 923C4453
	v_add_u32_e64 v27, v50, s60                                // 00000000324C: D134001B 00007932
	s_and_b32 s84, s84, 0xffffff                               // 000000003254: 8654FF54 00FFFFFF
	s_mul_i32 s60, s84, s68                                    // 00000000325C: 923C4454
	v_add_u32_e64 v28, v50, s60                                // 000000003260: D134001C 00007932
	s_and_b32 s85, s85, 0xffffff                               // 000000003268: 8655FF55 00FFFFFF
	s_mul_i32 s60, s85, s68                                    // 000000003270: 923C4455
	v_add_u32_e64 v29, v50, s60                                // 000000003274: D134001D 00007932
	s_and_b32 s86, s86, 0xffffff                               // 00000000327C: 8656FF56 00FFFFFF
	s_mul_i32 s60, s86, s68                                    // 000000003284: 923C4456
	v_add_u32_e64 v30, v50, s60                                // 000000003288: D134001E 00007932
	s_and_b32 s87, s87, 0xffffff                               // 000000003290: 8657FF57 00FFFFFF
	s_mul_i32 s60, s87, s68                                    // 000000003298: 923C4457
	v_add_u32_e64 v31, v50, s60                                // 00000000329C: D134001F 00007932
	s_and_b32 s88, s88, 0xffffff                               // 0000000032A4: 8658FF58 00FFFFFF
	s_mul_i32 s60, s88, s68                                    // 0000000032AC: 923C4458
	v_add_u32_e64 v32, v50, s60                                // 0000000032B0: D1340020 00007932
	s_and_b32 s89, s89, 0xffffff                               // 0000000032B8: 8659FF59 00FFFFFF
	s_mul_i32 s60, s89, s68                                    // 0000000032C0: 923C4459
	v_add_u32_e64 v33, v50, s60                                // 0000000032C4: D1340021 00007932
	v_lshlrev_b32_e32 v50, 2, v0                               // 0000000032CC: 24640082
	s_mul_i32 s60, s82, s71                                    // 0000000032D0: 923C4752
	v_add_u32_e64 v80, v50, s60                                // 0000000032D4: D1340050 00007932
	v_mov_b32_e32 v81, 0                                       // 0000000032DC: 7EA20280
	s_mul_i32 s60, s83, s71                                    // 0000000032E0: 923C4753
	v_add_u32_e64 v82, v50, s60                                // 0000000032E4: D1340052 00007932
	v_mov_b32_e32 v83, 0                                       // 0000000032EC: 7EA60280
	s_mul_i32 s60, s84, s71                                    // 0000000032F0: 923C4754
	v_add_u32_e64 v84, v50, s60                                // 0000000032F4: D1340054 00007932
	v_mov_b32_e32 v85, 0                                       // 0000000032FC: 7EAA0280
	s_mul_i32 s60, s85, s71                                    // 000000003300: 923C4755
	v_add_u32_e64 v86, v50, s60                                // 000000003304: D1340056 00007932
	v_mov_b32_e32 v87, 0                                       // 00000000330C: 7EAE0280
	s_mul_i32 s60, s86, s71                                    // 000000003310: 923C4756
	v_add_u32_e64 v88, v50, s60                                // 000000003314: D1340058 00007932
	v_mov_b32_e32 v89, 0                                       // 00000000331C: 7EB20280
	s_mul_i32 s60, s87, s71                                    // 000000003320: 923C4757
	v_add_u32_e64 v90, v50, s60                                // 000000003324: D134005A 00007932
	v_mov_b32_e32 v91, 0                                       // 00000000332C: 7EB60280
	s_mul_i32 s60, s88, s71                                    // 000000003330: 923C4758
	v_add_u32_e64 v92, v50, s60                                // 000000003334: D134005C 00007932
	v_mov_b32_e32 v93, 0                                       // 00000000333C: 7EBA0280
	s_mul_i32 s60, s89, s71                                    // 000000003340: 923C4759
	v_add_u32_e64 v94, v50, s60                                // 000000003344: D134005E 00007932
	v_mov_b32_e32 v95, 0                                       // 00000000334C: 7EBE0280
	s_mul_i32 s60, s7, 0x820                                   // 000000003350: 923CFF07 00000820
	s_add_u32 s50, 0, s60                                      // 000000003358: 80323C80
	s_add_u32 s51, 0x2080, s50                                 // 00000000335C: 803332FF 00002080
	v_lshrrev_b32_e32 v50, 4, v0                               // 000000003364: 20640084
	v_lshlrev_b32_e32 v51, 2, v50                              // 000000003368: 24666482
	v_and_b32_e32 v50, 15, v0                                  // 00000000336C: 2664008F
	v_lshrrev_b32_e32 v52, 2, v50                              // 000000003370: 20686482
	v_lshlrev_b32_e32 v52, 6, v52                              // 000000003374: 24686886
	v_add_u32_e32 v51, v52, v51                                // 000000003378: 68666734
	v_and_b32_e32 v50, 3, v0                                   // 00000000337C: 26640083
	v_mul_i32_i24_e32 v52, 0x208, v50                          // 000000003380: 0C6864FF 00000208
	v_add_u32_e32 v51, v52, v51                                // 000000003388: 68666734
	v_lshlrev_b32_e32 v2, 2, v51                               // 00000000338C: 24046682
	s_mul_i32 s60, s2, 0x180                                   // 000000003390: 923CFF02 00000180
	s_mul_i32 s60, s60, s69                                    // 000000003398: 923C453C
	s_mul_i32 s61, s5, s72                                     // 00000000339C: 923D4805
	s_add_u32 s60, s61, s60                                    // 0000000033A0: 803C3C3D
	s_add_u32 s24, s60, s24                                    // 0000000033A4: 8018183C
	s_addc_u32 s25, 0, s25                                     // 0000000033A8: 82191980
	s_mul_i32 s60, s7, 16                                      // 0000000033AC: 923C9007
	s_mul_i32 s60, s60, s69                                    // 0000000033B0: 923C453C
	v_lshlrev_b32_e32 v34, 4, v0                               // 0000000033B4: 24440084
	v_add_u32_e32 v34, s60, v34                                // 0000000033B8: 6844443C
	s_mul_i32 s60, 64, s69                                     // 0000000033BC: 923C45C0
	v_add_u32_e32 v35, s60, v34                                // 0000000033C0: 6846443C
	v_add_u32_e32 v36, s60, v35                                // 0000000033C4: 6848463C
	v_add_u32_e32 v37, s60, v36                                // 0000000033C8: 684A483C
	v_add_u32_e32 v38, s60, v37                                // 0000000033CC: 684C4A3C
	v_add_u32_e32 v39, s60, v38                                // 0000000033D0: 684E4C3C
	s_mov_b32 s92, s24                                         // 0000000033D4: BEDC0018
	s_mov_b32 s93, s25                                         // 0000000033D8: BEDD0019
	s_mov_b32 s94, s26                                         // 0000000033DC: BEDE001A
	s_mov_b32 s95, s27                                         // 0000000033E0: BEDF001B
	s_mul_i32 s60, s69, s65                                    // 0000000033E4: 923C4145
	s_add_u32 s92, s60, s92                                    // 0000000033E8: 805C5C3C
	s_addc_u32 s93, 0, s93                                     // 0000000033EC: 825D5D80
	s_mul_i32 s60, s2, 0x1800                                  // 0000000033F0: 923CFF02 00001800
	s_mul_i32 s61, s5, s73                                     // 0000000033F8: 923D4905
	s_add_u32 s60, s61, s60                                    // 0000000033FC: 803C3C3D
	s_add_u32 s12, s60, s12                                    // 000000003400: 800C0C3C
	s_addc_u32 s13, 0, s13                                     // 000000003404: 820D0D80
	s_mul_i32 s60, s7, 16                                      // 000000003408: 923C9007
	s_mul_i32 s60, s60, s70                                    // 00000000340C: 923C463C
	v_lshlrev_b32_e32 v40, 4, v0                               // 000000003410: 24500084
	v_add_u32_e32 v40, s60, v40                                // 000000003414: 6850503C
	s_mul_i32 s60, 64, s70                                     // 000000003418: 923C46C0
	v_add_u32_e32 v41, s60, v40                                // 00000000341C: 6852503C
	v_add_u32_e32 v42, s60, v41                                // 000000003420: 6854523C
	v_add_u32_e32 v43, s60, v42                                // 000000003424: 6856543C
	s_mul_i32 s60, s70, 0x100                                  // 000000003428: 923CFF46 00000100
	s_mov_b32 s78, 0x400                                       // 000000003430: BECE00FF 00000400
	s_mul_i32 s61, s78, 5                                      // 000000003438: 923D854E
	s_sub_u32 s56, s60, s61                                    // 00000000343C: 80B83D3C
	s_mul_i32 s60, s3, 32                                      // 000000003440: 923CA003
	s_mul_i32 s60, 4, s60                                      // 000000003444: 923C3C84
	s_add_u32 s40, s60, s40                                    // 000000003448: 8028283C
	s_addc_u32 s41, 0, s41                                     // 00000000344C: 82292980
	v_and_b32_e32 v50, 15, v0                                  // 000000003450: 2664008F
	v_lshlrev_b32_e32 v8, 2, v50                               // 000000003454: 24106482
	v_add_u32_e32 v9, 64, v8                                   // 000000003458: 681210C0
	v_lshrrev_b32_e32 v50, 4, v0                               // 00000000345C: 20640084
	v_lshlrev_b32_e32 v51, 2, v50                              // 000000003460: 24666482
	v_and_b32_e32 v50, 15, v0                                  // 000000003464: 2664008F
	v_lshrrev_b32_e32 v52, 2, v50                              // 000000003468: 20686482
	v_lshlrev_b32_e32 v52, 6, v52                              // 00000000346C: 24686886
	v_add_u32_e32 v51, v52, v51                                // 000000003470: 68666734
	v_and_b32_e32 v50, 3, v0                                   // 000000003474: 26640083
	v_add_u32_e32 v51, v50, v51                                // 000000003478: 68666732
	v_lshlrev_b32_e32 v10, 2, v51                              // 00000000347C: 24146682
	v_add_u32_e32 v11, 0x400, v10                              // 000000003480: 681614FF 00000400
	s_mul_i32 s60, s7, 16                                      // 000000003488: 923C9007
	s_mul_i32 s60, s60, 4                                      // 00000000348C: 923C843C
	v_add_u32_e32 v10, s60, v10                                // 000000003490: 6814143C
	v_add_u32_e32 v11, s60, v11                                // 000000003494: 6816163C
	v_mov_b32_e32 v5, v10                                      // 000000003498: 7E0A030A
	s_mul_i32 s60, s2, 0x180                                   // 00000000349C: 923CFF02 00000180
	s_mul_i32 s60, s60, 4                                      // 0000000034A4: 923C843C
	s_mul_i32 s61, s5, s74                                     // 0000000034A8: 923D4A05
	s_add_u32 s61, s61, s60                                    // 0000000034AC: 803D3C3D
	s_mul_i32 s62, s5, s76                                     // 0000000034B0: 923E4C05
	s_add_u32 s62, s62, s60                                    // 0000000034B4: 803E3C3E
	s_add_u32 s32, s61, s32                                    // 0000000034B8: 8020203D
	s_addc_u32 s33, 0, s33                                     // 0000000034BC: 82212180
	s_add_u32 s36, s62, s36                                    // 0000000034C0: 8024243E
	s_addc_u32 s37, 0, s37                                     // 0000000034C4: 82252580
	s_mul_i32 s60, s5, s75                                     // 0000000034C8: 923C4B05
	s_add_u32 s16, s60, s16                                    // 0000000034CC: 8010103C
	s_addc_u32 s17, 0, s17                                     // 0000000034D0: 82111180
	s_mov_b32 s57, 0x100                                       // 0000000034D4: BEB900FF 00000100
	s_mov_b32 s58, 0x1000                                      // 0000000034DC: BEBA00FF 00001000
	s_mov_b32 s79, 0x400                                       // 0000000034E4: BECF00FF 00000400
	s_mov_b32 s59, 0x200                                       // 0000000034EC: BEBB00FF 00000200
	s_mov_b32 s90, s58                                         // 0000000034F4: BEDA003A
	s_mov_b32 s52, 0x7060302                                   // 0000000034F8: BEB400FF 07060302
	s_mov_b32 s53, 0x400                                       // 000000003500: BEB500FF 00000400
	s_mov_b32 s54, 0x40100                                     // 000000003508: BEB600FF 00040100
	s_mov_b32 s55, 0x4020100                                   // 000000003510: BEB700FF 04020100
	s_mov_b32 s6, 0x3fb8aa3b                                   // 000000003518: BE8600FF 3FB8AA3B
	s_mov_b32 s77, 0xbd92220c                                  // 000000003520: BECD00FF BD92220C
	s_mov_b32 m0, s50                                          // 000000003528: BEFC0032
	v_mov_b32_e32 v1, 0xbfcc4231                               // 00000000352C: 7E0202FF BFCC4231
	v_mov_b32_e32 v45, 0xffff0000                              // 000000003534: 7E5A02FF FFFF0000
	v_mov_b32_e32 v46, 0x7fff0000                              // 00000000353C: 7E5C02FF 7FFF0000
	v_mov_b32_e32 v47, 0x7fff                                  // 000000003544: 7E5E02FF 00007FFF
	s_waitcnt vmcnt(0) expcnt(0) lgkmcnt(0)                    // 00000000354C: BF8C0000
	v_and_b32_e32 v6, 0xffffff, v6                             // 000000003550: 260C0CFF 00FFFFFF
	v_and_b32_e32 v7, 0xffffff, v7                             // 000000003558: 260E0EFF 00FFFFFF
	v_lshlrev_b32_e32 v6, 2, v6                                // 000000003560: 240C0C82
	v_lshlrev_b32_e32 v7, 2, v7                                // 000000003564: 240E0E82
	buffer_load_dword v14, v6, s[28:31], 0 offen               // 000000003568: E0501000 80070E06
	buffer_load_dword v15, v7, s[28:31], 0 offen               // 000000003570: E0501000 80070F07
	buffer_load_dword v16, v10, s[32:35], 0 offen              // 000000003578: E0501000 8008100A
	buffer_load_dword v17, v11, s[32:35], 0 offen              // 000000003580: E0501000 8008110B
	s_mul_i32 s60, 4, s65                                      // 000000003588: 923C4184
	s_add_u32 s32, s60, s32                                    // 00000000358C: 8020203C
	s_addc_u32 s33, 0, s33                                     // 000000003590: 82212180
	buffer_load_dword v48, v10, s[32:35], 0 offen              // 000000003594: E0501000 8008300A
	buffer_load_dword v49, v11, s[32:35], 0 offen              // 00000000359C: E0501000 8008310B
	buffer_load_dword v20, v8, s[40:43], 0 offen               // 0000000035A4: E0501000 800A1408
	buffer_load_dword v21, v9, s[40:43], 0 offen               // 0000000035AC: E0501000 800A1509
	buffer_load_dword v26, s[20:23], 0 offen lds               // 0000000035B4: E0511000 8005001A
	s_add_u32 m0, 0x100, s50                                   // 0000000035BC: 807C32FF 00000100
	buffer_load_dword v27, s[20:23], 0 offen lds               // 0000000035C4: E0511000 8005001B
	s_add_u32 m0, 0x200, s50                                   // 0000000035CC: 807C32FF 00000200
	buffer_load_dword v28, s[20:23], 0 offen lds               // 0000000035D4: E0511000 8005001C
	s_add_u32 m0, 0x300, s50                                   // 0000000035DC: 807C32FF 00000300
	buffer_load_dword v29, s[20:23], 0 offen lds               // 0000000035E4: E0511000 8005001D
	s_add_u32 m0, 0x400, s50                                   // 0000000035EC: 807C32FF 00000400
	buffer_load_dword v30, s[20:23], 0 offen lds               // 0000000035F4: E0511000 8005001E
	s_add_u32 m0, 0x500, s50                                   // 0000000035FC: 807C32FF 00000500
	buffer_load_dword v31, s[20:23], 0 offen lds               // 000000003604: E0511000 8005001F
	s_add_u32 m0, 0x600, s50                                   // 00000000360C: 807C32FF 00000600
	buffer_load_dword v32, s[20:23], 0 offen lds               // 000000003614: E0511000 80050020
	s_add_u32 m0, 0x700, s50                                   // 00000000361C: 807C32FF 00000700
	buffer_load_dword v33, s[20:23], 0 offen lds               // 000000003624: E0511000 80050021
	s_add_u32 m0, 0, s51                                       // 00000000362C: 807C3380
	s_add_u32 s20, s57, s20                                    // 000000003630: 80141439
	s_addc_u32 s21, 0, s21                                     // 000000003634: 82151580
	buffer_load_dwordx4 a[0:3], v34, s[24:27], 0 offen         // 000000003638: E05C1000 80860022
	buffer_load_dwordx4 a[4:7], v34, s[24:27], 0 offen offset:1024// 000000003640: E05C1400 80860422
	buffer_load_dwordx4 a[8:11], v34, s[24:27], 0 offen offset:2048// 000000003648: E05C1800 80860822
	buffer_load_dwordx4 a[12:15], v34, s[24:27], 0 offen offset:3072// 000000003650: E05C1C00 80860C22
	buffer_load_dwordx4 a[16:19], v35, s[24:27], 0 offen       // 000000003658: E05C1000 80861023
	buffer_load_dwordx4 a[20:23], v35, s[24:27], 0 offen offset:1024// 000000003660: E05C1400 80861423
	buffer_load_dwordx4 a[24:27], v35, s[24:27], 0 offen offset:2048// 000000003668: E05C1800 80861823
	buffer_load_dwordx4 a[28:31], v35, s[24:27], 0 offen offset:3072// 000000003670: E05C1C00 80861C23
	buffer_load_dwordx4 a[32:35], v36, s[24:27], 0 offen       // 000000003678: E05C1000 80862024
	buffer_load_dwordx4 a[36:39], v36, s[24:27], 0 offen offset:1024// 000000003680: E05C1400 80862424
	buffer_load_dwordx4 a[40:43], v36, s[24:27], 0 offen offset:2048// 000000003688: E05C1800 80862824
	buffer_load_dwordx4 a[44:47], v36, s[24:27], 0 offen offset:3072// 000000003690: E05C1C00 80862C24
	buffer_load_dwordx4 a[48:51], v37, s[24:27], 0 offen       // 000000003698: E05C1000 80863025
	buffer_load_dwordx4 a[52:55], v37, s[24:27], 0 offen offset:1024// 0000000036A0: E05C1400 80863425
	buffer_load_dwordx4 a[56:59], v37, s[24:27], 0 offen offset:2048// 0000000036A8: E05C1800 80863825
	buffer_load_dwordx4 a[60:63], v37, s[24:27], 0 offen offset:3072// 0000000036B0: E05C1C00 80863C25
	buffer_load_dwordx4 a[64:67], v38, s[24:27], 0 offen       // 0000000036B8: E05C1000 80864026
	buffer_load_dwordx4 a[68:71], v38, s[24:27], 0 offen offset:1024// 0000000036C0: E05C1400 80864426
	buffer_load_dwordx4 a[72:75], v38, s[24:27], 0 offen offset:2048// 0000000036C8: E05C1800 80864826
	buffer_load_dwordx4 a[76:79], v38, s[24:27], 0 offen offset:3072// 0000000036D0: E05C1C00 80864C26
	buffer_load_dwordx4 a[80:83], v39, s[24:27], 0 offen       // 0000000036D8: E05C1000 80865027
	buffer_load_dwordx4 a[84:87], v39, s[24:27], 0 offen offset:1024// 0000000036E0: E05C1400 80865427
	buffer_load_dwordx4 a[88:91], v39, s[24:27], 0 offen offset:2048// 0000000036E8: E05C1800 80865827
	buffer_load_dwordx4 a[92:95], v39, s[24:27], 0 offen offset:3072// 0000000036F0: E05C1C00 80865C27
	s_add_u32 s24, s58, s24                                    // 0000000036F8: 8018183A
	s_addc_u32 s25, 0, s25                                     // 0000000036FC: 82191980
	v_mov_b32_e32 v128, 0                                      // 000000003700: 7F000280
	v_mov_b32_e32 v64, 0                                       // 000000003704: 7E800280
	v_mov_b32_e32 v129, 0                                      // 000000003708: 7F020280
	v_mov_b32_e32 v65, 0                                       // 00000000370C: 7E820280
	v_mov_b32_e32 v130, 0                                      // 000000003710: 7F040280
	v_mov_b32_e32 v66, 0                                       // 000000003714: 7E840280
	v_mov_b32_e32 v131, 0                                      // 000000003718: 7F060280
	v_mov_b32_e32 v67, 0                                       // 00000000371C: 7E860280
	v_mov_b32_e32 v132, 0                                      // 000000003720: 7F080280
	v_mov_b32_e32 v68, 0                                       // 000000003724: 7E880280
	v_mov_b32_e32 v133, 0                                      // 000000003728: 7F0A0280
	v_mov_b32_e32 v69, 0                                       // 00000000372C: 7E8A0280
	v_mov_b32_e32 v134, 0                                      // 000000003730: 7F0C0280
	v_mov_b32_e32 v70, 0                                       // 000000003734: 7E8C0280
	v_mov_b32_e32 v135, 0                                      // 000000003738: 7F0E0280
	v_mov_b32_e32 v71, 0                                       // 00000000373C: 7E8E0280
	v_mov_b32_e32 v136, 0                                      // 000000003740: 7F100280
	v_mov_b32_e32 v72, 0                                       // 000000003744: 7E900280
	v_mov_b32_e32 v137, 0                                      // 000000003748: 7F120280
	v_mov_b32_e32 v73, 0                                       // 00000000374C: 7E920280
	v_mov_b32_e32 v138, 0                                      // 000000003750: 7F140280
	v_mov_b32_e32 v74, 0                                       // 000000003754: 7E940280
	v_mov_b32_e32 v139, 0                                      // 000000003758: 7F160280
	v_mov_b32_e32 v75, 0                                       // 00000000375C: 7E960280
	v_mov_b32_e32 v140, 0                                      // 000000003760: 7F180280
	v_mov_b32_e32 v76, 0                                       // 000000003764: 7E980280
	v_mov_b32_e32 v141, 0                                      // 000000003768: 7F1A0280
	v_mov_b32_e32 v77, 0                                       // 00000000376C: 7E9A0280
	v_mov_b32_e32 v142, 0                                      // 000000003770: 7F1C0280
	v_mov_b32_e32 v78, 0                                       // 000000003774: 7E9C0280
	v_mov_b32_e32 v143, 0                                      // 000000003778: 7F1E0280
	v_mov_b32_e32 v79, 0                                       // 00000000377C: 7E9E0280
	v_mov_b32_e32 v144, 0                                      // 000000003780: 7F200280
	v_mov_b32_e32 v80, 0                                       // 000000003784: 7EA00280
	v_mov_b32_e32 v145, 0                                      // 000000003788: 7F220280
	v_mov_b32_e32 v81, 0                                       // 00000000378C: 7EA20280
	v_mov_b32_e32 v146, 0                                      // 000000003790: 7F240280
	v_mov_b32_e32 v82, 0                                       // 000000003794: 7EA40280
	v_mov_b32_e32 v147, 0                                      // 000000003798: 7F260280
	v_mov_b32_e32 v83, 0                                       // 00000000379C: 7EA60280
	v_mov_b32_e32 v148, 0                                      // 0000000037A0: 7F280280
	v_mov_b32_e32 v84, 0                                       // 0000000037A4: 7EA80280
	v_mov_b32_e32 v149, 0                                      // 0000000037A8: 7F2A0280
	v_mov_b32_e32 v85, 0                                       // 0000000037AC: 7EAA0280
	v_mov_b32_e32 v150, 0                                      // 0000000037B0: 7F2C0280
	v_mov_b32_e32 v86, 0                                       // 0000000037B4: 7EAC0280
	v_mov_b32_e32 v151, 0                                      // 0000000037B8: 7F2E0280
	v_mov_b32_e32 v87, 0                                       // 0000000037BC: 7EAE0280
	v_mov_b32_e32 v152, 0                                      // 0000000037C0: 7F300280
	v_mov_b32_e32 v88, 0                                       // 0000000037C4: 7EB00280
	v_mov_b32_e32 v153, 0                                      // 0000000037C8: 7F320280
	v_mov_b32_e32 v89, 0                                       // 0000000037CC: 7EB20280
	v_mov_b32_e32 v154, 0                                      // 0000000037D0: 7F340280
	v_mov_b32_e32 v90, 0                                       // 0000000037D4: 7EB40280
	v_mov_b32_e32 v155, 0                                      // 0000000037D8: 7F360280
	v_mov_b32_e32 v91, 0                                       // 0000000037DC: 7EB60280
	v_mov_b32_e32 v156, 0                                      // 0000000037E0: 7F380280
	v_mov_b32_e32 v92, 0                                       // 0000000037E4: 7EB80280
	v_mov_b32_e32 v157, 0                                      // 0000000037E8: 7F3A0280
	v_mov_b32_e32 v93, 0                                       // 0000000037EC: 7EBA0280
	v_mov_b32_e32 v158, 0                                      // 0000000037F0: 7F3C0280
	v_mov_b32_e32 v94, 0                                       // 0000000037F4: 7EBC0280
	v_mov_b32_e32 v159, 0                                      // 0000000037F8: 7F3E0280
	v_mov_b32_e32 v95, 0                                       // 0000000037FC: 7EBE0280
	v_mov_b32_e32 v160, 0                                      // 000000003800: 7F400280
	v_mov_b32_e32 v96, 0                                       // 000000003804: 7EC00280
	v_mov_b32_e32 v161, 0                                      // 000000003808: 7F420280
	v_mov_b32_e32 v97, 0                                       // 00000000380C: 7EC20280
	v_mov_b32_e32 v162, 0                                      // 000000003810: 7F440280
	v_mov_b32_e32 v98, 0                                       // 000000003814: 7EC40280
	v_mov_b32_e32 v163, 0                                      // 000000003818: 7F460280
	v_mov_b32_e32 v99, 0                                       // 00000000381C: 7EC60280
	v_mov_b32_e32 v164, 0                                      // 000000003820: 7F480280
	v_mov_b32_e32 v100, 0                                      // 000000003824: 7EC80280
	v_mov_b32_e32 v165, 0                                      // 000000003828: 7F4A0280
	v_mov_b32_e32 v101, 0                                      // 00000000382C: 7ECA0280
	v_mov_b32_e32 v166, 0                                      // 000000003830: 7F4C0280
	v_mov_b32_e32 v102, 0                                      // 000000003834: 7ECC0280
	v_mov_b32_e32 v167, 0                                      // 000000003838: 7F4E0280
	v_mov_b32_e32 v103, 0                                      // 00000000383C: 7ECE0280
	v_mov_b32_e32 v168, 0                                      // 000000003840: 7F500280
	v_mov_b32_e32 v104, 0                                      // 000000003844: 7ED00280
	v_mov_b32_e32 v169, 0                                      // 000000003848: 7F520280
	v_mov_b32_e32 v105, 0                                      // 00000000384C: 7ED20280
	v_mov_b32_e32 v170, 0                                      // 000000003850: 7F540280
	v_mov_b32_e32 v106, 0                                      // 000000003854: 7ED40280
	v_mov_b32_e32 v171, 0                                      // 000000003858: 7F560280
	v_mov_b32_e32 v107, 0                                      // 00000000385C: 7ED60280
	v_mov_b32_e32 v172, 0                                      // 000000003860: 7F580280
	v_mov_b32_e32 v108, 0                                      // 000000003864: 7ED80280
	v_mov_b32_e32 v173, 0                                      // 000000003868: 7F5A0280
	v_mov_b32_e32 v109, 0                                      // 00000000386C: 7EDA0280
	v_mov_b32_e32 v174, 0                                      // 000000003870: 7F5C0280
	v_mov_b32_e32 v110, 0                                      // 000000003874: 7EDC0280
	v_mov_b32_e32 v175, 0                                      // 000000003878: 7F5E0280
	v_mov_b32_e32 v111, 0                                      // 00000000387C: 7EDE0280
	v_lshrrev_b32_e32 v50, 4, v0                               // 000000003880: 20640084
	v_mul_i32_i24_e32 v3, 34, v50                              // 000000003884: 0C0664A2
	v_and_b32_e32 v50, 15, v0                                  // 000000003888: 2664008F
	v_mul_i32_i24_e32 v51, 2, v50                              // 00000000388C: 0C666482
	v_add_u32_e32 v3, v51, v3                                  // 000000003890: 68060733
	s_mul_i32 s60, s7, 0x88                                    // 000000003894: 923CFF07 00000088
	v_add_u32_e32 v3, s60, v3                                  // 00000000389C: 6806063C
	v_lshlrev_b32_e32 v3, 2, v3                                // 0000000038A0: 24060682
	v_lshrrev_b32_e32 v50, 1, v0                               // 0000000038A4: 20640081
	v_mul_i32_i24_e32 v4, 34, v50                              // 0000000038A8: 0C0864A2
	v_and_b32_e32 v51, 1, v0                                   // 0000000038AC: 26660081
	v_add_u32_e32 v4, v51, v4                                  // 0000000038B0: 68080933
	s_mul_i32 s60, s7, 2                                       // 0000000038B4: 923C8207
	v_add_u32_e32 v4, s60, v4                                  // 0000000038B8: 6808083C
	v_lshlrev_b32_e32 v4, 2, v4                                // 0000000038BC: 24080882
	s_waitcnt vmcnt(24)                                        // 0000000038C0: BF8C4F78
	s_barrier                                                  // 0000000038C4: BF8A0000
	ds_read_b128 v[176:179], v2                                // 0000000038C8: D9FE0000 B0000002
	ds_read_b128 v[180:183], v2 offset:64                      // 0000000038D0: D9FE0040 B4000002
	ds_read_b128 v[184:187], v2 offset:128                     // 0000000038D8: D9FE0080 B8000002
	ds_read_b128 v[188:191], v2 offset:192                     // 0000000038E0: D9FE00C0 BC000002
	ds_read_b128 v[192:195], v2 offset:1024                    // 0000000038E8: D9FE0400 C0000002
	ds_read_b128 v[196:199], v2 offset:1088                    // 0000000038F0: D9FE0440 C4000002
	ds_read_b128 v[200:203], v2 offset:1152                    // 0000000038F8: D9FE0480 C8000002
	ds_read_b128 v[204:207], v2 offset:1216                    // 000000003900: D9FE04C0 CC000002
	s_cmp_lt_i32 s7, 2                                         // 000000003908: BF048207
	s_cbranch_scc0 label_1173                                  // 00000000390C: BF840EAF

0000000000003910 <label_02C4>:
	s_waitcnt vmcnt(16) lgkmcnt(0)                             // 000000003910: BF8C4070
	s_barrier                                                  // 000000003914: BF8A0000
	v_mfma_i32_16x16x32_i8 v[128:131], a[0:1], v[176:177], v[128:131]// 000000003918: D3D70080 0E036100
	v_mfma_i32_16x16x32_i8 v[128:131], a[2:3], v[178:179], v[128:131]// 000000003920: D3D70080 0E036502
	buffer_load_dwordx4 a[96:99], v34, s[92:95], 0 offen       // 000000003928: E05C1000 80976022
	v_mfma_i32_16x16x32_i8 v[128:131], a[4:5], v[180:181], v[128:131]// 000000003930: D3D70080 0E036904
	v_mfma_i32_16x16x32_i8 v[128:131], a[6:7], v[182:183], v[128:131]// 000000003938: D3D70080 0E036D06
	buffer_load_dword v26, s[20:23], 0 offen lds               // 000000003940: E0511000 8005001A
	s_add_u32 m0, 0x100, s51                                   // 000000003948: 807C33FF 00000100
	v_mfma_i32_16x16x32_i8 v[128:131], a[8:9], v[184:185], v[128:131]// 000000003950: D3D70080 0E037108
	v_mfma_i32_16x16x32_i8 v[128:131], a[10:11], v[186:187], v[128:131]// 000000003958: D3D70080 0E03750A
	buffer_load_dwordx4 a[100:103], v34, s[92:95], 0 offen offset:1024// 000000003960: E05C1400 80976422
	v_mfma_i32_16x16x32_i8 v[128:131], a[12:13], v[188:189], v[128:131]// 000000003968: D3D70080 0E03790C
	v_mfma_i32_16x16x32_i8 v[128:131], a[14:15], v[190:191], v[128:131]// 000000003970: D3D70080 0E037D0E
	buffer_load_dword v27, s[20:23], 0 offen lds               // 000000003978: E0511000 8005001B
	s_add_u32 m0, 0x200, s51                                   // 000000003980: 807C33FF 00000200
	v_mfma_i32_16x16x32_i8 v[132:135], a[0:1], v[192:193], v[132:135]// 000000003988: D3D70084 0E138100
	v_mfma_i32_16x16x32_i8 v[132:135], a[2:3], v[194:195], v[132:135]// 000000003990: D3D70084 0E138502
	buffer_load_dwordx4 a[104:107], v34, s[92:95], 0 offen offset:2048// 000000003998: E05C1800 80976822
	v_mfma_i32_16x16x32_i8 v[132:135], a[4:5], v[196:197], v[132:135]// 0000000039A0: D3D70084 0E138904
	v_mfma_i32_16x16x32_i8 v[132:135], a[6:7], v[198:199], v[132:135]// 0000000039A8: D3D70084 0E138D06
	buffer_load_dword v28, s[20:23], 0 offen lds               // 0000000039B0: E0511000 8005001C
	s_add_u32 m0, 0x300, s51                                   // 0000000039B8: 807C33FF 00000300
	v_mfma_i32_16x16x32_i8 v[132:135], a[8:9], v[200:201], v[132:135]// 0000000039C0: D3D70084 0E139108
	v_mfma_i32_16x16x32_i8 v[132:135], a[10:11], v[202:203], v[132:135]// 0000000039C8: D3D70084 0E13950A
	buffer_load_dwordx4 a[108:111], v34, s[92:95], 0 offen offset:3072// 0000000039D0: E05C1C00 80976C22
	v_mfma_i32_16x16x32_i8 v[132:135], a[12:13], v[204:205], v[132:135]// 0000000039D8: D3D70084 0E13990C
	v_mfma_i32_16x16x32_i8 v[132:135], a[14:15], v[206:207], v[132:135]// 0000000039E0: D3D70084 0E139D0E
	buffer_load_dword v29, s[20:23], 0 offen lds               // 0000000039E8: E0511000 8005001D
	s_add_u32 m0, 0x400, s51                                   // 0000000039F0: 807C33FF 00000400
	v_mfma_i32_16x16x32_i8 v[136:139], a[16:17], v[176:177], v[136:139]// 0000000039F8: D3D70088 0E236110
	v_mfma_i32_16x16x32_i8 v[136:139], a[18:19], v[178:179], v[136:139]// 000000003A00: D3D70088 0E236512
	buffer_load_dwordx4 a[112:115], v35, s[92:95], 0 offen     // 000000003A08: E05C1000 80977023
	v_mfma_i32_16x16x32_i8 v[136:139], a[20:21], v[180:181], v[136:139]// 000000003A10: D3D70088 0E236914
	v_mfma_i32_16x16x32_i8 v[136:139], a[22:23], v[182:183], v[136:139]// 000000003A18: D3D70088 0E236D16
	buffer_load_dword v30, s[20:23], 0 offen lds               // 000000003A20: E0511000 8005001E
	s_add_u32 m0, 0x500, s51                                   // 000000003A28: 807C33FF 00000500
	v_mfma_i32_16x16x32_i8 v[136:139], a[24:25], v[184:185], v[136:139]// 000000003A30: D3D70088 0E237118
	v_mfma_i32_16x16x32_i8 v[136:139], a[26:27], v[186:187], v[136:139]// 000000003A38: D3D70088 0E23751A
	buffer_load_dwordx4 a[116:119], v35, s[92:95], 0 offen offset:1024// 000000003A40: E05C1400 80977423
	v_mfma_i32_16x16x32_i8 v[136:139], a[28:29], v[188:189], v[136:139]// 000000003A48: D3D70088 0E23791C
	v_mfma_i32_16x16x32_i8 v[136:139], a[30:31], v[190:191], v[136:139]// 000000003A50: D3D70088 0E237D1E
	buffer_load_dword v31, s[20:23], 0 offen lds               // 000000003A58: E0511000 8005001F
	s_add_u32 m0, 0x600, s51                                   // 000000003A60: 807C33FF 00000600
	v_mfma_i32_16x16x32_i8 v[140:143], a[16:17], v[192:193], v[140:143]// 000000003A68: D3D7008C 0E338110
	v_mfma_i32_16x16x32_i8 v[140:143], a[18:19], v[194:195], v[140:143]// 000000003A70: D3D7008C 0E338512
	buffer_load_dwordx4 a[120:123], v35, s[92:95], 0 offen offset:2048// 000000003A78: E05C1800 80977823
	v_mfma_i32_16x16x32_i8 v[140:143], a[20:21], v[196:197], v[140:143]// 000000003A80: D3D7008C 0E338914
	v_mfma_i32_16x16x32_i8 v[140:143], a[22:23], v[198:199], v[140:143]// 000000003A88: D3D7008C 0E338D16
	buffer_load_dword v32, s[20:23], 0 offen lds               // 000000003A90: E0511000 80050020
	s_add_u32 m0, 0x700, s51                                   // 000000003A98: 807C33FF 00000700
	v_mfma_i32_16x16x32_i8 v[140:143], a[24:25], v[200:201], v[140:143]// 000000003AA0: D3D7008C 0E339118
	v_mfma_i32_16x16x32_i8 v[140:143], a[26:27], v[202:203], v[140:143]// 000000003AA8: D3D7008C 0E33951A
	buffer_load_dwordx4 a[124:127], v35, s[92:95], 0 offen offset:3072// 000000003AB0: E05C1C00 80977C23
	v_mfma_i32_16x16x32_i8 v[140:143], a[28:29], v[204:205], v[140:143]// 000000003AB8: D3D7008C 0E33991C
	v_mfma_i32_16x16x32_i8 v[140:143], a[30:31], v[206:207], v[140:143]// 000000003AC0: D3D7008C 0E339D1E
	buffer_load_dword v33, s[20:23], 0 offen lds               // 000000003AC8: E0511000 80050021
	s_add_u32 m0, 0, s50                                       // 000000003AD0: 807C3280
	s_waitcnt vmcnt(28)                                        // 000000003AD4: BF8C4F7C
	v_mfma_i32_16x16x32_i8 v[144:147], a[32:33], v[176:177], v[144:147]// 000000003AD8: D3D70090 0E436120
	v_mfma_i32_16x16x32_i8 v[144:147], a[34:35], v[178:179], v[144:147]// 000000003AE0: D3D70090 0E436522
	buffer_load_dwordx4 a[128:131], v36, s[92:95], 0 offen     // 000000003AE8: E05C1000 80978024
	v_mfma_i32_16x16x32_i8 v[144:147], a[36:37], v[180:181], v[144:147]// 000000003AF0: D3D70090 0E436924
	v_mfma_i32_16x16x32_i8 v[144:147], a[38:39], v[182:183], v[144:147]// 000000003AF8: D3D70090 0E436D26
	v_mfma_i32_16x16x32_i8 v[144:147], a[40:41], v[184:185], v[144:147]// 000000003B00: D3D70090 0E437128
	v_mfma_i32_16x16x32_i8 v[144:147], a[42:43], v[186:187], v[144:147]// 000000003B08: D3D70090 0E43752A
	buffer_load_dwordx4 a[132:135], v36, s[92:95], 0 offen offset:1024// 000000003B10: E05C1400 80978424
	v_mfma_i32_16x16x32_i8 v[144:147], a[44:45], v[188:189], v[144:147]// 000000003B18: D3D70090 0E43792C
	v_mfma_i32_16x16x32_i8 v[144:147], a[46:47], v[190:191], v[144:147]// 000000003B20: D3D70090 0E437D2E
	v_mfma_i32_16x16x32_i8 v[148:151], a[32:33], v[192:193], v[148:151]// 000000003B28: D3D70094 0E538120
	v_mfma_i32_16x16x32_i8 v[148:151], a[34:35], v[194:195], v[148:151]// 000000003B30: D3D70094 0E538522
	buffer_load_dwordx4 a[136:139], v36, s[92:95], 0 offen offset:2048// 000000003B38: E05C1800 80978824
	v_mfma_i32_16x16x32_i8 v[148:151], a[36:37], v[196:197], v[148:151]// 000000003B40: D3D70094 0E538924
	v_mfma_i32_16x16x32_i8 v[148:151], a[38:39], v[198:199], v[148:151]// 000000003B48: D3D70094 0E538D26
	v_mfma_i32_16x16x32_i8 v[148:151], a[40:41], v[200:201], v[148:151]// 000000003B50: D3D70094 0E539128
	v_mfma_i32_16x16x32_i8 v[148:151], a[42:43], v[202:203], v[148:151]// 000000003B58: D3D70094 0E53952A
	buffer_load_dwordx4 a[140:143], v36, s[92:95], 0 offen offset:3072// 000000003B60: E05C1C00 80978C24
	v_mfma_i32_16x16x32_i8 v[148:151], a[44:45], v[204:205], v[148:151]// 000000003B68: D3D70094 0E53992C
	v_mfma_i32_16x16x32_i8 v[148:151], a[46:47], v[206:207], v[148:151]// 000000003B70: D3D70094 0E539D2E
	s_waitcnt vmcnt(28)                                        // 000000003B78: BF8C4F7C
	v_mfma_i32_16x16x32_i8 v[152:155], a[48:49], v[176:177], v[152:155]// 000000003B7C: D3D70098 0E636130
	v_mfma_i32_16x16x32_i8 v[152:155], a[50:51], v[178:179], v[152:155]// 000000003B84: D3D70098 0E636532
	buffer_load_dwordx4 a[144:147], v37, s[92:95], 0 offen     // 000000003B8C: E05C1000 80979025
	v_mfma_i32_16x16x32_i8 v[152:155], a[52:53], v[180:181], v[152:155]// 000000003B94: D3D70098 0E636934
	v_mfma_i32_16x16x32_i8 v[152:155], a[54:55], v[182:183], v[152:155]// 000000003B9C: D3D70098 0E636D36
	v_mfma_i32_16x16x32_i8 v[152:155], a[56:57], v[184:185], v[152:155]// 000000003BA4: D3D70098 0E637138
	v_mfma_i32_16x16x32_i8 v[152:155], a[58:59], v[186:187], v[152:155]// 000000003BAC: D3D70098 0E63753A
	buffer_load_dwordx4 a[148:151], v37, s[92:95], 0 offen offset:1024// 000000003BB4: E05C1400 80979425
	v_mfma_i32_16x16x32_i8 v[152:155], a[60:61], v[188:189], v[152:155]// 000000003BBC: D3D70098 0E63793C
	v_mfma_i32_16x16x32_i8 v[152:155], a[62:63], v[190:191], v[152:155]// 000000003BC4: D3D70098 0E637D3E
	v_mfma_i32_16x16x32_i8 v[156:159], a[48:49], v[192:193], v[156:159]// 000000003BCC: D3D7009C 0E738130
	v_mfma_i32_16x16x32_i8 v[156:159], a[50:51], v[194:195], v[156:159]// 000000003BD4: D3D7009C 0E738532
	buffer_load_dwordx4 a[152:155], v37, s[92:95], 0 offen offset:2048// 000000003BDC: E05C1800 80979825
	v_mfma_i32_16x16x32_i8 v[156:159], a[52:53], v[196:197], v[156:159]// 000000003BE4: D3D7009C 0E738934
	v_mfma_i32_16x16x32_i8 v[156:159], a[54:55], v[198:199], v[156:159]// 000000003BEC: D3D7009C 0E738D36
	v_mfma_i32_16x16x32_i8 v[156:159], a[56:57], v[200:201], v[156:159]// 000000003BF4: D3D7009C 0E739138
	v_mfma_i32_16x16x32_i8 v[156:159], a[58:59], v[202:203], v[156:159]// 000000003BFC: D3D7009C 0E73953A
	buffer_load_dwordx4 a[156:159], v37, s[92:95], 0 offen offset:3072// 000000003C04: E05C1C00 80979C25
	v_mfma_i32_16x16x32_i8 v[156:159], a[60:61], v[204:205], v[156:159]// 000000003C0C: D3D7009C 0E73993C
	v_mfma_i32_16x16x32_i8 v[156:159], a[62:63], v[206:207], v[156:159]// 000000003C14: D3D7009C 0E739D3E
	s_waitcnt vmcnt(28)                                        // 000000003C1C: BF8C4F7C
	v_mfma_i32_16x16x32_i8 v[160:163], a[64:65], v[176:177], v[160:163]// 000000003C20: D3D700A0 0E836140
	v_mfma_i32_16x16x32_i8 v[160:163], a[66:67], v[178:179], v[160:163]// 000000003C28: D3D700A0 0E836542
	buffer_load_dwordx4 a[160:163], v38, s[92:95], 0 offen     // 000000003C30: E05C1000 8097A026
	v_mfma_i32_16x16x32_i8 v[160:163], a[68:69], v[180:181], v[160:163]// 000000003C38: D3D700A0 0E836944
	v_mfma_i32_16x16x32_i8 v[160:163], a[70:71], v[182:183], v[160:163]// 000000003C40: D3D700A0 0E836D46
	v_mfma_i32_16x16x32_i8 v[160:163], a[72:73], v[184:185], v[160:163]// 000000003C48: D3D700A0 0E837148
	v_mfma_i32_16x16x32_i8 v[160:163], a[74:75], v[186:187], v[160:163]// 000000003C50: D3D700A0 0E83754A
	buffer_load_dwordx4 a[164:167], v38, s[92:95], 0 offen offset:1024// 000000003C58: E05C1400 8097A426
	v_mfma_i32_16x16x32_i8 v[160:163], a[76:77], v[188:189], v[160:163]// 000000003C60: D3D700A0 0E83794C
	v_mfma_i32_16x16x32_i8 v[160:163], a[78:79], v[190:191], v[160:163]// 000000003C68: D3D700A0 0E837D4E
	v_mfma_i32_16x16x32_i8 v[164:167], a[64:65], v[192:193], v[164:167]// 000000003C70: D3D700A4 0E938140
	v_mfma_i32_16x16x32_i8 v[164:167], a[66:67], v[194:195], v[164:167]// 000000003C78: D3D700A4 0E938542
	buffer_load_dwordx4 a[168:171], v38, s[92:95], 0 offen offset:2048// 000000003C80: E05C1800 8097A826
	v_mfma_i32_16x16x32_i8 v[164:167], a[68:69], v[196:197], v[164:167]// 000000003C88: D3D700A4 0E938944
	v_mfma_i32_16x16x32_i8 v[164:167], a[70:71], v[198:199], v[164:167]// 000000003C90: D3D700A4 0E938D46
	v_mfma_i32_16x16x32_i8 v[164:167], a[72:73], v[200:201], v[164:167]// 000000003C98: D3D700A4 0E939148
	v_mfma_i32_16x16x32_i8 v[164:167], a[74:75], v[202:203], v[164:167]// 000000003CA0: D3D700A4 0E93954A
	buffer_load_dwordx4 a[172:175], v38, s[92:95], 0 offen offset:3072// 000000003CA8: E05C1C00 8097AC26
	v_mfma_i32_16x16x32_i8 v[164:167], a[76:77], v[204:205], v[164:167]// 000000003CB0: D3D700A4 0E93994C
	v_mfma_i32_16x16x32_i8 v[164:167], a[78:79], v[206:207], v[164:167]// 000000003CB8: D3D700A4 0E939D4E
	s_waitcnt vmcnt(28)                                        // 000000003CC0: BF8C4F7C
	v_mfma_i32_16x16x32_i8 v[168:171], a[80:81], v[176:177], v[168:171]// 000000003CC4: D3D700A8 0EA36150
	v_mfma_i32_16x16x32_i8 v[168:171], a[82:83], v[178:179], v[168:171]// 000000003CCC: D3D700A8 0EA36552
	buffer_load_dwordx4 a[176:179], v39, s[92:95], 0 offen     // 000000003CD4: E05C1000 8097B027
	v_mfma_i32_16x16x32_i8 v[168:171], a[84:85], v[180:181], v[168:171]// 000000003CDC: D3D700A8 0EA36954
	v_mfma_i32_16x16x32_i8 v[168:171], a[86:87], v[182:183], v[168:171]// 000000003CE4: D3D700A8 0EA36D56
	v_mfma_i32_16x16x32_i8 v[168:171], a[88:89], v[184:185], v[168:171]// 000000003CEC: D3D700A8 0EA37158
	v_mfma_i32_16x16x32_i8 v[168:171], a[90:91], v[186:187], v[168:171]// 000000003CF4: D3D700A8 0EA3755A
	buffer_load_dwordx4 a[180:183], v39, s[92:95], 0 offen offset:1024// 000000003CFC: E05C1400 8097B427
	v_mfma_i32_16x16x32_i8 v[168:171], a[92:93], v[188:189], v[168:171]// 000000003D04: D3D700A8 0EA3795C
	v_mfma_i32_16x16x32_i8 v[168:171], a[94:95], v[190:191], v[168:171]// 000000003D0C: D3D700A8 0EA37D5E
	v_mfma_i32_16x16x32_i8 v[172:175], a[80:81], v[192:193], v[172:175]// 000000003D14: D3D700AC 0EB38150
	v_mfma_i32_16x16x32_i8 v[172:175], a[82:83], v[194:195], v[172:175]// 000000003D1C: D3D700AC 0EB38552
	buffer_load_dwordx4 a[184:187], v39, s[92:95], 0 offen offset:2048// 000000003D24: E05C1800 8097B827
	v_mfma_i32_16x16x32_i8 v[172:175], a[84:85], v[196:197], v[172:175]// 000000003D2C: D3D700AC 0EB38954
	v_mfma_i32_16x16x32_i8 v[172:175], a[86:87], v[198:199], v[172:175]// 000000003D34: D3D700AC 0EB38D56
	v_mfma_i32_16x16x32_i8 v[172:175], a[88:89], v[200:201], v[172:175]// 000000003D3C: D3D700AC 0EB39158
	v_mfma_i32_16x16x32_i8 v[172:175], a[90:91], v[202:203], v[172:175]// 000000003D44: D3D700AC 0EB3955A
	buffer_load_dwordx4 a[188:191], v39, s[92:95], 0 offen offset:3072// 000000003D4C: E05C1C00 8097BC27
	v_mfma_i32_16x16x32_i8 v[172:175], a[92:93], v[204:205], v[172:175]// 000000003D54: D3D700AC 0EB3995C
	v_mfma_i32_16x16x32_i8 v[172:175], a[94:95], v[206:207], v[172:175]// 000000003D5C: D3D700AC 0EB39D5E
	s_waitcnt vmcnt(16)                                        // 000000003D64: BF8C4F70
	s_barrier                                                  // 000000003D68: BF8A0000
	v_mfma_i32_16x16x32_i8 v[64:67], a[96:97], v[176:177], v[64:67]// 000000003D6C: D3D70040 0D036160
	v_mfma_i32_16x16x32_i8 v[64:67], a[98:99], v[178:179], v[64:67]// 000000003D74: D3D70040 0D036562
	buffer_load_dwordx4 a[0:3], v34, s[24:27], 0 offen         // 000000003D7C: E05C1000 80860022
	v_mfma_i32_16x16x32_i8 v[64:67], a[100:101], v[180:181], v[64:67]// 000000003D84: D3D70040 0D036964
	v_mfma_i32_16x16x32_i8 v[64:67], a[102:103], v[182:183], v[64:67]// 000000003D8C: D3D70040 0D036D66
	v_mfma_i32_16x16x32_i8 v[64:67], a[104:105], v[184:185], v[64:67]// 000000003D94: D3D70040 0D037168
	v_mfma_i32_16x16x32_i8 v[64:67], a[106:107], v[186:187], v[64:67]// 000000003D9C: D3D70040 0D03756A
	buffer_load_dwordx4 a[4:7], v34, s[24:27], 0 offen offset:1024// 000000003DA4: E05C1400 80860422
	v_mfma_i32_16x16x32_i8 v[64:67], a[108:109], v[188:189], v[64:67]// 000000003DAC: D3D70040 0D03796C
	v_mfma_i32_16x16x32_i8 v[64:67], a[110:111], v[190:191], v[64:67]// 000000003DB4: D3D70040 0D037D6E
	v_mfma_i32_16x16x32_i8 v[68:71], a[96:97], v[192:193], v[68:71]// 000000003DBC: D3D70044 0D138160
	v_mfma_i32_16x16x32_i8 v[68:71], a[98:99], v[194:195], v[68:71]// 000000003DC4: D3D70044 0D138562
	buffer_load_dwordx4 a[8:11], v34, s[24:27], 0 offen offset:2048// 000000003DCC: E05C1800 80860822
	v_mfma_i32_16x16x32_i8 v[68:71], a[100:101], v[196:197], v[68:71]// 000000003DD4: D3D70044 0D138964
	v_mfma_i32_16x16x32_i8 v[68:71], a[102:103], v[198:199], v[68:71]// 000000003DDC: D3D70044 0D138D66
	v_mfma_i32_16x16x32_i8 v[68:71], a[104:105], v[200:201], v[68:71]// 000000003DE4: D3D70044 0D139168
	v_mfma_i32_16x16x32_i8 v[68:71], a[106:107], v[202:203], v[68:71]// 000000003DEC: D3D70044 0D13956A
	buffer_load_dwordx4 a[12:15], v34, s[24:27], 0 offen offset:3072// 000000003DF4: E05C1C00 80860C22
	v_mfma_i32_16x16x32_i8 v[68:71], a[108:109], v[204:205], v[68:71]// 000000003DFC: D3D70044 0D13996C
	v_mfma_i32_16x16x32_i8 v[68:71], a[110:111], v[206:207], v[68:71]// 000000003E04: D3D70044 0D139D6E
	v_mfma_i32_16x16x32_i8 v[72:75], a[112:113], v[176:177], v[72:75]// 000000003E0C: D3D70048 0D236170
	v_mfma_i32_16x16x32_i8 v[72:75], a[114:115], v[178:179], v[72:75]// 000000003E14: D3D70048 0D236572
	buffer_load_dwordx4 a[16:19], v35, s[24:27], 0 offen       // 000000003E1C: E05C1000 80861023
	v_mfma_i32_16x16x32_i8 v[72:75], a[116:117], v[180:181], v[72:75]// 000000003E24: D3D70048 0D236974
	v_mfma_i32_16x16x32_i8 v[72:75], a[118:119], v[182:183], v[72:75]// 000000003E2C: D3D70048 0D236D76
	v_mfma_i32_16x16x32_i8 v[72:75], a[120:121], v[184:185], v[72:75]// 000000003E34: D3D70048 0D237178
	v_mfma_i32_16x16x32_i8 v[72:75], a[122:123], v[186:187], v[72:75]// 000000003E3C: D3D70048 0D23757A
	buffer_load_dwordx4 a[20:23], v35, s[24:27], 0 offen offset:1024// 000000003E44: E05C1400 80861423
	v_mfma_i32_16x16x32_i8 v[72:75], a[124:125], v[188:189], v[72:75]// 000000003E4C: D3D70048 0D23797C
	v_mfma_i32_16x16x32_i8 v[72:75], a[126:127], v[190:191], v[72:75]// 000000003E54: D3D70048 0D237D7E
	v_mfma_i32_16x16x32_i8 v[76:79], a[112:113], v[192:193], v[76:79]// 000000003E5C: D3D7004C 0D338170
	v_mfma_i32_16x16x32_i8 v[76:79], a[114:115], v[194:195], v[76:79]// 000000003E64: D3D7004C 0D338572
	buffer_load_dwordx4 a[24:27], v35, s[24:27], 0 offen offset:2048// 000000003E6C: E05C1800 80861823
	v_mfma_i32_16x16x32_i8 v[76:79], a[116:117], v[196:197], v[76:79]// 000000003E74: D3D7004C 0D338974
	v_mfma_i32_16x16x32_i8 v[76:79], a[118:119], v[198:199], v[76:79]// 000000003E7C: D3D7004C 0D338D76
	v_mfma_i32_16x16x32_i8 v[76:79], a[120:121], v[200:201], v[76:79]// 000000003E84: D3D7004C 0D339178
	v_mfma_i32_16x16x32_i8 v[76:79], a[122:123], v[202:203], v[76:79]// 000000003E8C: D3D7004C 0D33957A
	buffer_load_dwordx4 a[28:31], v35, s[24:27], 0 offen offset:3072// 000000003E94: E05C1C00 80861C23
	v_mfma_i32_16x16x32_i8 v[76:79], a[124:125], v[204:205], v[76:79]// 000000003E9C: D3D7004C 0D33997C
	v_mfma_i32_16x16x32_i8 v[76:79], a[126:127], v[206:207], v[76:79]// 000000003EA4: D3D7004C 0D339D7E
	s_waitcnt vmcnt(20)                                        // 000000003EAC: BF8C4F74
	v_mfma_i32_16x16x32_i8 v[80:83], a[128:129], v[176:177], v[80:83]// 000000003EB0: D3D70050 0D436180
	v_mfma_i32_16x16x32_i8 v[80:83], a[130:131], v[178:179], v[80:83]// 000000003EB8: D3D70050 0D436582
	buffer_load_dwordx4 a[32:35], v36, s[24:27], 0 offen       // 000000003EC0: E05C1000 80862024
	v_mfma_i32_16x16x32_i8 v[80:83], a[132:133], v[180:181], v[80:83]// 000000003EC8: D3D70050 0D436984
	v_mfma_i32_16x16x32_i8 v[80:83], a[134:135], v[182:183], v[80:83]// 000000003ED0: D3D70050 0D436D86
	ds_read_b128 v[208:211], v2 offset:8320                    // 000000003ED8: D9FE2080 D0000002
	v_mfma_i32_16x16x32_i8 v[80:83], a[136:137], v[184:185], v[80:83]// 000000003EE0: D3D70050 0D437188
	v_mfma_i32_16x16x32_i8 v[80:83], a[138:139], v[186:187], v[80:83]// 000000003EE8: D3D70050 0D43758A
	buffer_load_dwordx4 a[36:39], v36, s[24:27], 0 offen offset:1024// 000000003EF0: E05C1400 80862424
	v_mfma_i32_16x16x32_i8 v[80:83], a[140:141], v[188:189], v[80:83]// 000000003EF8: D3D70050 0D43798C
	v_mfma_i32_16x16x32_i8 v[80:83], a[142:143], v[190:191], v[80:83]// 000000003F00: D3D70050 0D437D8E
	ds_read_b128 v[212:215], v2 offset:8384                    // 000000003F08: D9FE20C0 D4000002
	v_mfma_i32_16x16x32_i8 v[84:87], a[128:129], v[192:193], v[84:87]// 000000003F10: D3D70054 0D538180
	v_mfma_i32_16x16x32_i8 v[84:87], a[130:131], v[194:195], v[84:87]// 000000003F18: D3D70054 0D538582
	buffer_load_dwordx4 a[40:43], v36, s[24:27], 0 offen offset:2048// 000000003F20: E05C1800 80862824
	v_mfma_i32_16x16x32_i8 v[84:87], a[132:133], v[196:197], v[84:87]// 000000003F28: D3D70054 0D538984
	v_mfma_i32_16x16x32_i8 v[84:87], a[134:135], v[198:199], v[84:87]// 000000003F30: D3D70054 0D538D86
	ds_read_b128 v[216:219], v2 offset:8448                    // 000000003F38: D9FE2100 D8000002
	v_mfma_i32_16x16x32_i8 v[84:87], a[136:137], v[200:201], v[84:87]// 000000003F40: D3D70054 0D539188
	v_mfma_i32_16x16x32_i8 v[84:87], a[138:139], v[202:203], v[84:87]// 000000003F48: D3D70054 0D53958A
	buffer_load_dwordx4 a[44:47], v36, s[24:27], 0 offen offset:3072// 000000003F50: E05C1C00 80862C24
	v_mfma_i32_16x16x32_i8 v[84:87], a[140:141], v[204:205], v[84:87]// 000000003F58: D3D70054 0D53998C
	v_mfma_i32_16x16x32_i8 v[84:87], a[142:143], v[206:207], v[84:87]// 000000003F60: D3D70054 0D539D8E
	ds_read_b128 v[220:223], v2 offset:8512                    // 000000003F68: D9FE2140 DC000002
	s_waitcnt vmcnt(20)                                        // 000000003F70: BF8C4F74
	v_mfma_i32_16x16x32_i8 v[88:91], a[144:145], v[176:177], v[88:91]// 000000003F74: D3D70058 0D636190
	v_mfma_i32_16x16x32_i8 v[88:91], a[146:147], v[178:179], v[88:91]// 000000003F7C: D3D70058 0D636592
	buffer_load_dwordx4 a[48:51], v37, s[24:27], 0 offen       // 000000003F84: E05C1000 80863025
	v_mfma_i32_16x16x32_i8 v[88:91], a[148:149], v[180:181], v[88:91]// 000000003F8C: D3D70058 0D636994
	v_mfma_i32_16x16x32_i8 v[88:91], a[150:151], v[182:183], v[88:91]// 000000003F94: D3D70058 0D636D96
	ds_read_b128 v[224:227], v2 offset:9344                    // 000000003F9C: D9FE2480 E0000002
	v_mfma_i32_16x16x32_i8 v[88:91], a[152:153], v[184:185], v[88:91]// 000000003FA4: D3D70058 0D637198
	v_mfma_i32_16x16x32_i8 v[88:91], a[154:155], v[186:187], v[88:91]// 000000003FAC: D3D70058 0D63759A
	buffer_load_dwordx4 a[52:55], v37, s[24:27], 0 offen offset:1024// 000000003FB4: E05C1400 80863425
	v_mfma_i32_16x16x32_i8 v[88:91], a[156:157], v[188:189], v[88:91]// 000000003FBC: D3D70058 0D63799C
	v_mfma_i32_16x16x32_i8 v[88:91], a[158:159], v[190:191], v[88:91]// 000000003FC4: D3D70058 0D637D9E
	ds_read_b128 v[228:231], v2 offset:9408                    // 000000003FCC: D9FE24C0 E4000002
	v_mfma_i32_16x16x32_i8 v[92:95], a[144:145], v[192:193], v[92:95]// 000000003FD4: D3D7005C 0D738190
	v_mfma_i32_16x16x32_i8 v[92:95], a[146:147], v[194:195], v[92:95]// 000000003FDC: D3D7005C 0D738592
	buffer_load_dwordx4 a[56:59], v37, s[24:27], 0 offen offset:2048// 000000003FE4: E05C1800 80863825
	v_mfma_i32_16x16x32_i8 v[92:95], a[148:149], v[196:197], v[92:95]// 000000003FEC: D3D7005C 0D738994
	v_mfma_i32_16x16x32_i8 v[92:95], a[150:151], v[198:199], v[92:95]// 000000003FF4: D3D7005C 0D738D96
	ds_read_b128 v[232:235], v2 offset:9472                    // 000000003FFC: D9FE2500 E8000002
	v_mfma_i32_16x16x32_i8 v[92:95], a[152:153], v[200:201], v[92:95]// 000000004004: D3D7005C 0D739198
	v_mfma_i32_16x16x32_i8 v[92:95], a[154:155], v[202:203], v[92:95]// 00000000400C: D3D7005C 0D73959A
	buffer_load_dwordx4 a[60:63], v37, s[24:27], 0 offen offset:3072// 000000004014: E05C1C00 80863C25
	v_mfma_i32_16x16x32_i8 v[92:95], a[156:157], v[204:205], v[92:95]// 00000000401C: D3D7005C 0D73999C
	v_mfma_i32_16x16x32_i8 v[92:95], a[158:159], v[206:207], v[92:95]// 000000004024: D3D7005C 0D739D9E
	ds_read_b128 v[236:239], v2 offset:9536                    // 00000000402C: D9FE2540 EC000002
	s_waitcnt vmcnt(20)                                        // 000000004034: BF8C4F74
	v_mfma_i32_16x16x32_i8 v[96:99], a[160:161], v[176:177], v[96:99]// 000000004038: D3D70060 0D8361A0
	v_mfma_i32_16x16x32_i8 v[96:99], a[162:163], v[178:179], v[96:99]// 000000004040: D3D70060 0D8365A2
	buffer_load_dwordx4 a[64:67], v38, s[24:27], 0 offen       // 000000004048: E05C1000 80864026
	v_mfma_i32_16x16x32_i8 v[96:99], a[164:165], v[180:181], v[96:99]// 000000004050: D3D70060 0D8369A4
	v_mfma_i32_16x16x32_i8 v[96:99], a[166:167], v[182:183], v[96:99]// 000000004058: D3D70060 0D836DA6
	v_mfma_i32_16x16x32_i8 v[96:99], a[168:169], v[184:185], v[96:99]// 000000004060: D3D70060 0D8371A8
	v_mfma_i32_16x16x32_i8 v[96:99], a[170:171], v[186:187], v[96:99]// 000000004068: D3D70060 0D8375AA
	buffer_load_dwordx4 a[68:71], v38, s[24:27], 0 offen offset:1024// 000000004070: E05C1400 80864426
	v_mfma_i32_16x16x32_i8 v[96:99], a[172:173], v[188:189], v[96:99]// 000000004078: D3D70060 0D8379AC
	v_mfma_i32_16x16x32_i8 v[96:99], a[174:175], v[190:191], v[96:99]// 000000004080: D3D70060 0D837DAE
	v_mfma_i32_16x16x32_i8 v[100:103], a[160:161], v[192:193], v[100:103]// 000000004088: D3D70064 0D9381A0
	v_mfma_i32_16x16x32_i8 v[100:103], a[162:163], v[194:195], v[100:103]// 000000004090: D3D70064 0D9385A2
	buffer_load_dwordx4 a[72:75], v38, s[24:27], 0 offen offset:2048// 000000004098: E05C1800 80864826
	v_mfma_i32_16x16x32_i8 v[100:103], a[164:165], v[196:197], v[100:103]// 0000000040A0: D3D70064 0D9389A4
	v_mfma_i32_16x16x32_i8 v[100:103], a[166:167], v[198:199], v[100:103]// 0000000040A8: D3D70064 0D938DA6
	v_mfma_i32_16x16x32_i8 v[100:103], a[168:169], v[200:201], v[100:103]// 0000000040B0: D3D70064 0D9391A8
	v_mfma_i32_16x16x32_i8 v[100:103], a[170:171], v[202:203], v[100:103]// 0000000040B8: D3D70064 0D9395AA
	buffer_load_dwordx4 a[76:79], v38, s[24:27], 0 offen offset:3072// 0000000040C0: E05C1C00 80864C26
	v_mfma_i32_16x16x32_i8 v[100:103], a[172:173], v[204:205], v[100:103]// 0000000040C8: D3D70064 0D9399AC
	v_mfma_i32_16x16x32_i8 v[100:103], a[174:175], v[206:207], v[100:103]// 0000000040D0: D3D70064 0D939DAE
	s_waitcnt vmcnt(20)                                        // 0000000040D8: BF8C4F74
	v_mfma_i32_16x16x32_i8 v[104:107], a[176:177], v[176:177], v[104:107]// 0000000040DC: D3D70068 0DA361B0
	v_mfma_i32_16x16x32_i8 v[104:107], a[178:179], v[178:179], v[104:107]// 0000000040E4: D3D70068 0DA365B2
	buffer_load_dwordx4 a[80:83], v39, s[24:27], 0 offen       // 0000000040EC: E05C1000 80865027
	v_mfma_i32_16x16x32_i8 v[104:107], a[180:181], v[180:181], v[104:107]// 0000000040F4: D3D70068 0DA369B4
	v_mfma_i32_16x16x32_i8 v[104:107], a[182:183], v[182:183], v[104:107]// 0000000040FC: D3D70068 0DA36DB6
	v_mfma_i32_16x16x32_i8 v[104:107], a[184:185], v[184:185], v[104:107]// 000000004104: D3D70068 0DA371B8
	v_mfma_i32_16x16x32_i8 v[104:107], a[186:187], v[186:187], v[104:107]// 00000000410C: D3D70068 0DA375BA
	buffer_load_dwordx4 a[84:87], v39, s[24:27], 0 offen offset:1024// 000000004114: E05C1400 80865427
	v_mfma_i32_16x16x32_i8 v[104:107], a[188:189], v[188:189], v[104:107]// 00000000411C: D3D70068 0DA379BC
	v_mfma_i32_16x16x32_i8 v[104:107], a[190:191], v[190:191], v[104:107]// 000000004124: D3D70068 0DA37DBE
	v_mfma_i32_16x16x32_i8 v[108:111], a[176:177], v[192:193], v[108:111]// 00000000412C: D3D7006C 0DB381B0
	v_mfma_i32_16x16x32_i8 v[108:111], a[178:179], v[194:195], v[108:111]// 000000004134: D3D7006C 0DB385B2
	buffer_load_dwordx4 a[88:91], v39, s[24:27], 0 offen offset:2048// 00000000413C: E05C1800 80865827
	v_mfma_i32_16x16x32_i8 v[108:111], a[180:181], v[196:197], v[108:111]// 000000004144: D3D7006C 0DB389B4
	v_mfma_i32_16x16x32_i8 v[108:111], a[182:183], v[198:199], v[108:111]// 00000000414C: D3D7006C 0DB38DB6
	v_mfma_i32_16x16x32_i8 v[108:111], a[184:185], v[200:201], v[108:111]// 000000004154: D3D7006C 0DB391B8
	v_mfma_i32_16x16x32_i8 v[108:111], a[186:187], v[202:203], v[108:111]// 00000000415C: D3D7006C 0DB395BA
	buffer_load_dwordx4 a[92:95], v39, s[24:27], 0 offen offset:3072// 000000004164: E05C1C00 80865C27
	v_mfma_i32_16x16x32_i8 v[108:111], a[188:189], v[204:205], v[108:111]// 00000000416C: D3D7006C 0DB399BC
	v_mfma_i32_16x16x32_i8 v[108:111], a[190:191], v[206:207], v[108:111]// 000000004174: D3D7006C 0DB39DBE
	s_add_u32 s60, 0x200, s80                                  // 00000000417C: 803C50FF 00000200
	s_cmp_lt_u32 s60, s81                                      // 000000004184: BF0A513C
	s_cselect_b32 s57, s57, 0                                  // 000000004188: 85398039
	s_add_u32 s60, 0x200, s80                                  // 00000000418C: 803C50FF 00000200
	s_cmp_lt_u32 s60, s81                                      // 000000004194: BF0A513C
	s_cselect_b32 s58, s58, 0                                  // 000000004198: 853A803A
	s_add_u32 s20, s57, s20                                    // 00000000419C: 80141439
	s_addc_u32 s21, 0, s21                                     // 0000000041A0: 82151580
	s_add_u32 s24, s58, s24                                    // 0000000041A4: 8018183A
	s_addc_u32 s25, 0, s25                                     // 0000000041A8: 82191980
	s_add_u32 s92, s90, s92                                    // 0000000041AC: 805C5C5A
	s_addc_u32 s93, 0, s93                                     // 0000000041B0: 825D5D80
	s_addk_i32 s80, 0x100                                      // 0000000041B4: B7500100
	s_cmp_lt_i32 s80, s81                                      // 0000000041B8: BF045150
	s_cbranch_scc0 label_071D                                  // 0000000041BC: BF84022D
	s_waitcnt vmcnt(16) lgkmcnt(0)                             // 0000000041C0: BF8C4070
	s_barrier                                                  // 0000000041C4: BF8A0000
	v_mfma_i32_16x16x32_i8 v[128:131], a[0:1], v[208:209], v[128:131]// 0000000041C8: D3D70080 0E03A100
	v_mfma_i32_16x16x32_i8 v[128:131], a[2:3], v[210:211], v[128:131]// 0000000041D0: D3D70080 0E03A502
	buffer_load_dwordx4 a[96:99], v34, s[92:95], 0 offen       // 0000000041D8: E05C1000 80976022
	v_mfma_i32_16x16x32_i8 v[128:131], a[4:5], v[212:213], v[128:131]// 0000000041E0: D3D70080 0E03A904
	v_mfma_i32_16x16x32_i8 v[128:131], a[6:7], v[214:215], v[128:131]// 0000000041E8: D3D70080 0E03AD06
	buffer_load_dword v26, s[20:23], 0 offen lds               // 0000000041F0: E0511000 8005001A
	s_add_u32 m0, 0x100, s50                                   // 0000000041F8: 807C32FF 00000100
	v_mfma_i32_16x16x32_i8 v[128:131], a[8:9], v[216:217], v[128:131]// 000000004200: D3D70080 0E03B108
	v_mfma_i32_16x16x32_i8 v[128:131], a[10:11], v[218:219], v[128:131]// 000000004208: D3D70080 0E03B50A
	buffer_load_dwordx4 a[100:103], v34, s[92:95], 0 offen offset:1024// 000000004210: E05C1400 80976422
	v_mfma_i32_16x16x32_i8 v[128:131], a[12:13], v[220:221], v[128:131]// 000000004218: D3D70080 0E03B90C
	v_mfma_i32_16x16x32_i8 v[128:131], a[14:15], v[222:223], v[128:131]// 000000004220: D3D70080 0E03BD0E
	buffer_load_dword v27, s[20:23], 0 offen lds               // 000000004228: E0511000 8005001B
	s_add_u32 m0, 0x200, s50                                   // 000000004230: 807C32FF 00000200
	v_mfma_i32_16x16x32_i8 v[132:135], a[0:1], v[224:225], v[132:135]// 000000004238: D3D70084 0E13C100
	v_mfma_i32_16x16x32_i8 v[132:135], a[2:3], v[226:227], v[132:135]// 000000004240: D3D70084 0E13C502
	buffer_load_dwordx4 a[104:107], v34, s[92:95], 0 offen offset:2048// 000000004248: E05C1800 80976822
	v_mfma_i32_16x16x32_i8 v[132:135], a[4:5], v[228:229], v[132:135]// 000000004250: D3D70084 0E13C904
	v_mfma_i32_16x16x32_i8 v[132:135], a[6:7], v[230:231], v[132:135]// 000000004258: D3D70084 0E13CD06
	buffer_load_dword v28, s[20:23], 0 offen lds               // 000000004260: E0511000 8005001C
	s_add_u32 m0, 0x300, s50                                   // 000000004268: 807C32FF 00000300
	v_mfma_i32_16x16x32_i8 v[132:135], a[8:9], v[232:233], v[132:135]// 000000004270: D3D70084 0E13D108
	v_mfma_i32_16x16x32_i8 v[132:135], a[10:11], v[234:235], v[132:135]// 000000004278: D3D70084 0E13D50A
	buffer_load_dwordx4 a[108:111], v34, s[92:95], 0 offen offset:3072// 000000004280: E05C1C00 80976C22
	v_mfma_i32_16x16x32_i8 v[132:135], a[12:13], v[236:237], v[132:135]// 000000004288: D3D70084 0E13D90C
	v_mfma_i32_16x16x32_i8 v[132:135], a[14:15], v[238:239], v[132:135]// 000000004290: D3D70084 0E13DD0E
	buffer_load_dword v29, s[20:23], 0 offen lds               // 000000004298: E0511000 8005001D
	s_add_u32 m0, 0x400, s50                                   // 0000000042A0: 807C32FF 00000400
	v_mfma_i32_16x16x32_i8 v[136:139], a[16:17], v[208:209], v[136:139]// 0000000042A8: D3D70088 0E23A110
	v_mfma_i32_16x16x32_i8 v[136:139], a[18:19], v[210:211], v[136:139]// 0000000042B0: D3D70088 0E23A512
	buffer_load_dwordx4 a[112:115], v35, s[92:95], 0 offen     // 0000000042B8: E05C1000 80977023
	v_mfma_i32_16x16x32_i8 v[136:139], a[20:21], v[212:213], v[136:139]// 0000000042C0: D3D70088 0E23A914
	v_mfma_i32_16x16x32_i8 v[136:139], a[22:23], v[214:215], v[136:139]// 0000000042C8: D3D70088 0E23AD16
	buffer_load_dword v30, s[20:23], 0 offen lds               // 0000000042D0: E0511000 8005001E
	s_add_u32 m0, 0x500, s50                                   // 0000000042D8: 807C32FF 00000500
	v_mfma_i32_16x16x32_i8 v[136:139], a[24:25], v[216:217], v[136:139]// 0000000042E0: D3D70088 0E23B118
	v_mfma_i32_16x16x32_i8 v[136:139], a[26:27], v[218:219], v[136:139]// 0000000042E8: D3D70088 0E23B51A
	buffer_load_dwordx4 a[116:119], v35, s[92:95], 0 offen offset:1024// 0000000042F0: E05C1400 80977423
	v_mfma_i32_16x16x32_i8 v[136:139], a[28:29], v[220:221], v[136:139]// 0000000042F8: D3D70088 0E23B91C
	v_mfma_i32_16x16x32_i8 v[136:139], a[30:31], v[222:223], v[136:139]// 000000004300: D3D70088 0E23BD1E
	buffer_load_dword v31, s[20:23], 0 offen lds               // 000000004308: E0511000 8005001F
	s_add_u32 m0, 0x600, s50                                   // 000000004310: 807C32FF 00000600
	v_mfma_i32_16x16x32_i8 v[140:143], a[16:17], v[224:225], v[140:143]// 000000004318: D3D7008C 0E33C110
	v_mfma_i32_16x16x32_i8 v[140:143], a[18:19], v[226:227], v[140:143]// 000000004320: D3D7008C 0E33C512
	buffer_load_dwordx4 a[120:123], v35, s[92:95], 0 offen offset:2048// 000000004328: E05C1800 80977823
	v_mfma_i32_16x16x32_i8 v[140:143], a[20:21], v[228:229], v[140:143]// 000000004330: D3D7008C 0E33C914
	v_mfma_i32_16x16x32_i8 v[140:143], a[22:23], v[230:231], v[140:143]// 000000004338: D3D7008C 0E33CD16
	buffer_load_dword v32, s[20:23], 0 offen lds               // 000000004340: E0511000 80050020
	s_add_u32 m0, 0x700, s50                                   // 000000004348: 807C32FF 00000700
	v_mfma_i32_16x16x32_i8 v[140:143], a[24:25], v[232:233], v[140:143]// 000000004350: D3D7008C 0E33D118
	v_mfma_i32_16x16x32_i8 v[140:143], a[26:27], v[234:235], v[140:143]// 000000004358: D3D7008C 0E33D51A
	buffer_load_dwordx4 a[124:127], v35, s[92:95], 0 offen offset:3072// 000000004360: E05C1C00 80977C23
	v_mfma_i32_16x16x32_i8 v[140:143], a[28:29], v[236:237], v[140:143]// 000000004368: D3D7008C 0E33D91C
	v_mfma_i32_16x16x32_i8 v[140:143], a[30:31], v[238:239], v[140:143]// 000000004370: D3D7008C 0E33DD1E
	buffer_load_dword v33, s[20:23], 0 offen lds               // 000000004378: E0511000 80050021
	s_add_u32 m0, 0, s51                                       // 000000004380: 807C3380
	s_waitcnt vmcnt(28)                                        // 000000004384: BF8C4F7C
	v_mfma_i32_16x16x32_i8 v[144:147], a[32:33], v[208:209], v[144:147]// 000000004388: D3D70090 0E43A120
	v_mfma_i32_16x16x32_i8 v[144:147], a[34:35], v[210:211], v[144:147]// 000000004390: D3D70090 0E43A522
	buffer_load_dwordx4 a[128:131], v36, s[92:95], 0 offen     // 000000004398: E05C1000 80978024
	v_mfma_i32_16x16x32_i8 v[144:147], a[36:37], v[212:213], v[144:147]// 0000000043A0: D3D70090 0E43A924
	v_mfma_i32_16x16x32_i8 v[144:147], a[38:39], v[214:215], v[144:147]// 0000000043A8: D3D70090 0E43AD26
	v_mfma_i32_16x16x32_i8 v[144:147], a[40:41], v[216:217], v[144:147]// 0000000043B0: D3D70090 0E43B128
	v_mfma_i32_16x16x32_i8 v[144:147], a[42:43], v[218:219], v[144:147]// 0000000043B8: D3D70090 0E43B52A
	buffer_load_dwordx4 a[132:135], v36, s[92:95], 0 offen offset:1024// 0000000043C0: E05C1400 80978424
	v_mfma_i32_16x16x32_i8 v[144:147], a[44:45], v[220:221], v[144:147]// 0000000043C8: D3D70090 0E43B92C
	v_mfma_i32_16x16x32_i8 v[144:147], a[46:47], v[222:223], v[144:147]// 0000000043D0: D3D70090 0E43BD2E
	v_mfma_i32_16x16x32_i8 v[148:151], a[32:33], v[224:225], v[148:151]// 0000000043D8: D3D70094 0E53C120
	v_mfma_i32_16x16x32_i8 v[148:151], a[34:35], v[226:227], v[148:151]// 0000000043E0: D3D70094 0E53C522
	buffer_load_dwordx4 a[136:139], v36, s[92:95], 0 offen offset:2048// 0000000043E8: E05C1800 80978824
	v_mfma_i32_16x16x32_i8 v[148:151], a[36:37], v[228:229], v[148:151]// 0000000043F0: D3D70094 0E53C924
	v_mfma_i32_16x16x32_i8 v[148:151], a[38:39], v[230:231], v[148:151]// 0000000043F8: D3D70094 0E53CD26
	v_mfma_i32_16x16x32_i8 v[148:151], a[40:41], v[232:233], v[148:151]// 000000004400: D3D70094 0E53D128
	v_mfma_i32_16x16x32_i8 v[148:151], a[42:43], v[234:235], v[148:151]// 000000004408: D3D70094 0E53D52A
	buffer_load_dwordx4 a[140:143], v36, s[92:95], 0 offen offset:3072// 000000004410: E05C1C00 80978C24
	v_mfma_i32_16x16x32_i8 v[148:151], a[44:45], v[236:237], v[148:151]// 000000004418: D3D70094 0E53D92C
	v_mfma_i32_16x16x32_i8 v[148:151], a[46:47], v[238:239], v[148:151]// 000000004420: D3D70094 0E53DD2E
	s_waitcnt vmcnt(28)                                        // 000000004428: BF8C4F7C
	v_mfma_i32_16x16x32_i8 v[152:155], a[48:49], v[208:209], v[152:155]// 00000000442C: D3D70098 0E63A130
	v_mfma_i32_16x16x32_i8 v[152:155], a[50:51], v[210:211], v[152:155]// 000000004434: D3D70098 0E63A532
	buffer_load_dwordx4 a[144:147], v37, s[92:95], 0 offen     // 00000000443C: E05C1000 80979025
	v_mfma_i32_16x16x32_i8 v[152:155], a[52:53], v[212:213], v[152:155]// 000000004444: D3D70098 0E63A934
	v_mfma_i32_16x16x32_i8 v[152:155], a[54:55], v[214:215], v[152:155]// 00000000444C: D3D70098 0E63AD36
	v_mfma_i32_16x16x32_i8 v[152:155], a[56:57], v[216:217], v[152:155]// 000000004454: D3D70098 0E63B138
	v_mfma_i32_16x16x32_i8 v[152:155], a[58:59], v[218:219], v[152:155]// 00000000445C: D3D70098 0E63B53A
	buffer_load_dwordx4 a[148:151], v37, s[92:95], 0 offen offset:1024// 000000004464: E05C1400 80979425
	v_mfma_i32_16x16x32_i8 v[152:155], a[60:61], v[220:221], v[152:155]// 00000000446C: D3D70098 0E63B93C
	v_mfma_i32_16x16x32_i8 v[152:155], a[62:63], v[222:223], v[152:155]// 000000004474: D3D70098 0E63BD3E
	v_mfma_i32_16x16x32_i8 v[156:159], a[48:49], v[224:225], v[156:159]// 00000000447C: D3D7009C 0E73C130
	v_mfma_i32_16x16x32_i8 v[156:159], a[50:51], v[226:227], v[156:159]// 000000004484: D3D7009C 0E73C532
	buffer_load_dwordx4 a[152:155], v37, s[92:95], 0 offen offset:2048// 00000000448C: E05C1800 80979825
	v_mfma_i32_16x16x32_i8 v[156:159], a[52:53], v[228:229], v[156:159]// 000000004494: D3D7009C 0E73C934
	v_mfma_i32_16x16x32_i8 v[156:159], a[54:55], v[230:231], v[156:159]// 00000000449C: D3D7009C 0E73CD36
	v_mfma_i32_16x16x32_i8 v[156:159], a[56:57], v[232:233], v[156:159]// 0000000044A4: D3D7009C 0E73D138
	v_mfma_i32_16x16x32_i8 v[156:159], a[58:59], v[234:235], v[156:159]// 0000000044AC: D3D7009C 0E73D53A
	buffer_load_dwordx4 a[156:159], v37, s[92:95], 0 offen offset:3072// 0000000044B4: E05C1C00 80979C25
	v_mfma_i32_16x16x32_i8 v[156:159], a[60:61], v[236:237], v[156:159]// 0000000044BC: D3D7009C 0E73D93C
	v_mfma_i32_16x16x32_i8 v[156:159], a[62:63], v[238:239], v[156:159]// 0000000044C4: D3D7009C 0E73DD3E
	s_waitcnt vmcnt(28)                                        // 0000000044CC: BF8C4F7C
	v_mfma_i32_16x16x32_i8 v[160:163], a[64:65], v[208:209], v[160:163]// 0000000044D0: D3D700A0 0E83A140
	v_mfma_i32_16x16x32_i8 v[160:163], a[66:67], v[210:211], v[160:163]// 0000000044D8: D3D700A0 0E83A542
	buffer_load_dwordx4 a[160:163], v38, s[92:95], 0 offen     // 0000000044E0: E05C1000 8097A026
	v_mfma_i32_16x16x32_i8 v[160:163], a[68:69], v[212:213], v[160:163]// 0000000044E8: D3D700A0 0E83A944
	v_mfma_i32_16x16x32_i8 v[160:163], a[70:71], v[214:215], v[160:163]// 0000000044F0: D3D700A0 0E83AD46
	v_mfma_i32_16x16x32_i8 v[160:163], a[72:73], v[216:217], v[160:163]// 0000000044F8: D3D700A0 0E83B148
	v_mfma_i32_16x16x32_i8 v[160:163], a[74:75], v[218:219], v[160:163]// 000000004500: D3D700A0 0E83B54A
	buffer_load_dwordx4 a[164:167], v38, s[92:95], 0 offen offset:1024// 000000004508: E05C1400 8097A426
	v_mfma_i32_16x16x32_i8 v[160:163], a[76:77], v[220:221], v[160:163]// 000000004510: D3D700A0 0E83B94C
	v_mfma_i32_16x16x32_i8 v[160:163], a[78:79], v[222:223], v[160:163]// 000000004518: D3D700A0 0E83BD4E
	v_mfma_i32_16x16x32_i8 v[164:167], a[64:65], v[224:225], v[164:167]// 000000004520: D3D700A4 0E93C140
	v_mfma_i32_16x16x32_i8 v[164:167], a[66:67], v[226:227], v[164:167]// 000000004528: D3D700A4 0E93C542
	buffer_load_dwordx4 a[168:171], v38, s[92:95], 0 offen offset:2048// 000000004530: E05C1800 8097A826
	v_mfma_i32_16x16x32_i8 v[164:167], a[68:69], v[228:229], v[164:167]// 000000004538: D3D700A4 0E93C944
	v_mfma_i32_16x16x32_i8 v[164:167], a[70:71], v[230:231], v[164:167]// 000000004540: D3D700A4 0E93CD46
	v_mfma_i32_16x16x32_i8 v[164:167], a[72:73], v[232:233], v[164:167]// 000000004548: D3D700A4 0E93D148
	v_mfma_i32_16x16x32_i8 v[164:167], a[74:75], v[234:235], v[164:167]// 000000004550: D3D700A4 0E93D54A
	buffer_load_dwordx4 a[172:175], v38, s[92:95], 0 offen offset:3072// 000000004558: E05C1C00 8097AC26
	v_mfma_i32_16x16x32_i8 v[164:167], a[76:77], v[236:237], v[164:167]// 000000004560: D3D700A4 0E93D94C
	v_mfma_i32_16x16x32_i8 v[164:167], a[78:79], v[238:239], v[164:167]// 000000004568: D3D700A4 0E93DD4E
	s_waitcnt vmcnt(28)                                        // 000000004570: BF8C4F7C
	v_mfma_i32_16x16x32_i8 v[168:171], a[80:81], v[208:209], v[168:171]// 000000004574: D3D700A8 0EA3A150
	v_mfma_i32_16x16x32_i8 v[168:171], a[82:83], v[210:211], v[168:171]// 00000000457C: D3D700A8 0EA3A552
	buffer_load_dwordx4 a[176:179], v39, s[92:95], 0 offen     // 000000004584: E05C1000 8097B027
	v_mfma_i32_16x16x32_i8 v[168:171], a[84:85], v[212:213], v[168:171]// 00000000458C: D3D700A8 0EA3A954
	v_mfma_i32_16x16x32_i8 v[168:171], a[86:87], v[214:215], v[168:171]// 000000004594: D3D700A8 0EA3AD56
	v_mfma_i32_16x16x32_i8 v[168:171], a[88:89], v[216:217], v[168:171]// 00000000459C: D3D700A8 0EA3B158
	v_mfma_i32_16x16x32_i8 v[168:171], a[90:91], v[218:219], v[168:171]// 0000000045A4: D3D700A8 0EA3B55A
	buffer_load_dwordx4 a[180:183], v39, s[92:95], 0 offen offset:1024// 0000000045AC: E05C1400 8097B427
	v_mfma_i32_16x16x32_i8 v[168:171], a[92:93], v[220:221], v[168:171]// 0000000045B4: D3D700A8 0EA3B95C
	v_mfma_i32_16x16x32_i8 v[168:171], a[94:95], v[222:223], v[168:171]// 0000000045BC: D3D700A8 0EA3BD5E
	v_mfma_i32_16x16x32_i8 v[172:175], a[80:81], v[224:225], v[172:175]// 0000000045C4: D3D700AC 0EB3C150
	v_mfma_i32_16x16x32_i8 v[172:175], a[82:83], v[226:227], v[172:175]// 0000000045CC: D3D700AC 0EB3C552
	buffer_load_dwordx4 a[184:187], v39, s[92:95], 0 offen offset:2048// 0000000045D4: E05C1800 8097B827
	v_mfma_i32_16x16x32_i8 v[172:175], a[84:85], v[228:229], v[172:175]// 0000000045DC: D3D700AC 0EB3C954
	v_mfma_i32_16x16x32_i8 v[172:175], a[86:87], v[230:231], v[172:175]// 0000000045E4: D3D700AC 0EB3CD56
	v_mfma_i32_16x16x32_i8 v[172:175], a[88:89], v[232:233], v[172:175]// 0000000045EC: D3D700AC 0EB3D158
	v_mfma_i32_16x16x32_i8 v[172:175], a[90:91], v[234:235], v[172:175]// 0000000045F4: D3D700AC 0EB3D55A
	buffer_load_dwordx4 a[188:191], v39, s[92:95], 0 offen offset:3072// 0000000045FC: E05C1C00 8097BC27
	v_mfma_i32_16x16x32_i8 v[172:175], a[92:93], v[236:237], v[172:175]// 000000004604: D3D700AC 0EB3D95C
	v_mfma_i32_16x16x32_i8 v[172:175], a[94:95], v[238:239], v[172:175]// 00000000460C: D3D700AC 0EB3DD5E
	s_waitcnt vmcnt(16)                                        // 000000004614: BF8C4F70
	s_barrier                                                  // 000000004618: BF8A0000
	v_mfma_i32_16x16x32_i8 v[64:67], a[96:97], v[208:209], v[64:67]// 00000000461C: D3D70040 0D03A160
	v_mfma_i32_16x16x32_i8 v[64:67], a[98:99], v[210:211], v[64:67]// 000000004624: D3D70040 0D03A562
	buffer_load_dwordx4 a[0:3], v34, s[24:27], 0 offen         // 00000000462C: E05C1000 80860022
	v_mfma_i32_16x16x32_i8 v[64:67], a[100:101], v[212:213], v[64:67]// 000000004634: D3D70040 0D03A964
	v_mfma_i32_16x16x32_i8 v[64:67], a[102:103], v[214:215], v[64:67]// 00000000463C: D3D70040 0D03AD66
	v_mfma_i32_16x16x32_i8 v[64:67], a[104:105], v[216:217], v[64:67]// 000000004644: D3D70040 0D03B168
	v_mfma_i32_16x16x32_i8 v[64:67], a[106:107], v[218:219], v[64:67]// 00000000464C: D3D70040 0D03B56A
	buffer_load_dwordx4 a[4:7], v34, s[24:27], 0 offen offset:1024// 000000004654: E05C1400 80860422
	v_mfma_i32_16x16x32_i8 v[64:67], a[108:109], v[220:221], v[64:67]// 00000000465C: D3D70040 0D03B96C
	v_mfma_i32_16x16x32_i8 v[64:67], a[110:111], v[222:223], v[64:67]// 000000004664: D3D70040 0D03BD6E
	v_mfma_i32_16x16x32_i8 v[68:71], a[96:97], v[224:225], v[68:71]// 00000000466C: D3D70044 0D13C160
	v_mfma_i32_16x16x32_i8 v[68:71], a[98:99], v[226:227], v[68:71]// 000000004674: D3D70044 0D13C562
	buffer_load_dwordx4 a[8:11], v34, s[24:27], 0 offen offset:2048// 00000000467C: E05C1800 80860822
	v_mfma_i32_16x16x32_i8 v[68:71], a[100:101], v[228:229], v[68:71]// 000000004684: D3D70044 0D13C964
	v_mfma_i32_16x16x32_i8 v[68:71], a[102:103], v[230:231], v[68:71]// 00000000468C: D3D70044 0D13CD66
	v_mfma_i32_16x16x32_i8 v[68:71], a[104:105], v[232:233], v[68:71]// 000000004694: D3D70044 0D13D168
	v_mfma_i32_16x16x32_i8 v[68:71], a[106:107], v[234:235], v[68:71]// 00000000469C: D3D70044 0D13D56A
	buffer_load_dwordx4 a[12:15], v34, s[24:27], 0 offen offset:3072// 0000000046A4: E05C1C00 80860C22
	v_mfma_i32_16x16x32_i8 v[68:71], a[108:109], v[236:237], v[68:71]// 0000000046AC: D3D70044 0D13D96C
	v_mfma_i32_16x16x32_i8 v[68:71], a[110:111], v[238:239], v[68:71]// 0000000046B4: D3D70044 0D13DD6E
	v_mfma_i32_16x16x32_i8 v[72:75], a[112:113], v[208:209], v[72:75]// 0000000046BC: D3D70048 0D23A170
	v_mfma_i32_16x16x32_i8 v[72:75], a[114:115], v[210:211], v[72:75]// 0000000046C4: D3D70048 0D23A572
	buffer_load_dwordx4 a[16:19], v35, s[24:27], 0 offen       // 0000000046CC: E05C1000 80861023
	v_mfma_i32_16x16x32_i8 v[72:75], a[116:117], v[212:213], v[72:75]// 0000000046D4: D3D70048 0D23A974
	v_mfma_i32_16x16x32_i8 v[72:75], a[118:119], v[214:215], v[72:75]// 0000000046DC: D3D70048 0D23AD76
	v_mfma_i32_16x16x32_i8 v[72:75], a[120:121], v[216:217], v[72:75]// 0000000046E4: D3D70048 0D23B178
	v_mfma_i32_16x16x32_i8 v[72:75], a[122:123], v[218:219], v[72:75]// 0000000046EC: D3D70048 0D23B57A
	buffer_load_dwordx4 a[20:23], v35, s[24:27], 0 offen offset:1024// 0000000046F4: E05C1400 80861423
	v_mfma_i32_16x16x32_i8 v[72:75], a[124:125], v[220:221], v[72:75]// 0000000046FC: D3D70048 0D23B97C
	v_mfma_i32_16x16x32_i8 v[72:75], a[126:127], v[222:223], v[72:75]// 000000004704: D3D70048 0D23BD7E
	v_mfma_i32_16x16x32_i8 v[76:79], a[112:113], v[224:225], v[76:79]// 00000000470C: D3D7004C 0D33C170
	v_mfma_i32_16x16x32_i8 v[76:79], a[114:115], v[226:227], v[76:79]// 000000004714: D3D7004C 0D33C572
	buffer_load_dwordx4 a[24:27], v35, s[24:27], 0 offen offset:2048// 00000000471C: E05C1800 80861823
	v_mfma_i32_16x16x32_i8 v[76:79], a[116:117], v[228:229], v[76:79]// 000000004724: D3D7004C 0D33C974
	v_mfma_i32_16x16x32_i8 v[76:79], a[118:119], v[230:231], v[76:79]// 00000000472C: D3D7004C 0D33CD76
	v_mfma_i32_16x16x32_i8 v[76:79], a[120:121], v[232:233], v[76:79]// 000000004734: D3D7004C 0D33D178
	v_mfma_i32_16x16x32_i8 v[76:79], a[122:123], v[234:235], v[76:79]// 00000000473C: D3D7004C 0D33D57A
	buffer_load_dwordx4 a[28:31], v35, s[24:27], 0 offen offset:3072// 000000004744: E05C1C00 80861C23
	v_mfma_i32_16x16x32_i8 v[76:79], a[124:125], v[236:237], v[76:79]// 00000000474C: D3D7004C 0D33D97C
	v_mfma_i32_16x16x32_i8 v[76:79], a[126:127], v[238:239], v[76:79]// 000000004754: D3D7004C 0D33DD7E
	s_waitcnt vmcnt(20)                                        // 00000000475C: BF8C4F74
	v_mfma_i32_16x16x32_i8 v[80:83], a[128:129], v[208:209], v[80:83]// 000000004760: D3D70050 0D43A180
	v_mfma_i32_16x16x32_i8 v[80:83], a[130:131], v[210:211], v[80:83]// 000000004768: D3D70050 0D43A582
	buffer_load_dwordx4 a[32:35], v36, s[24:27], 0 offen       // 000000004770: E05C1000 80862024
	v_mfma_i32_16x16x32_i8 v[80:83], a[132:133], v[212:213], v[80:83]// 000000004778: D3D70050 0D43A984
	v_mfma_i32_16x16x32_i8 v[80:83], a[134:135], v[214:215], v[80:83]// 000000004780: D3D70050 0D43AD86
	ds_read_b128 v[176:179], v2                                // 000000004788: D9FE0000 B0000002
	v_mfma_i32_16x16x32_i8 v[80:83], a[136:137], v[216:217], v[80:83]// 000000004790: D3D70050 0D43B188
	v_mfma_i32_16x16x32_i8 v[80:83], a[138:139], v[218:219], v[80:83]// 000000004798: D3D70050 0D43B58A
	buffer_load_dwordx4 a[36:39], v36, s[24:27], 0 offen offset:1024// 0000000047A0: E05C1400 80862424
	v_mfma_i32_16x16x32_i8 v[80:83], a[140:141], v[220:221], v[80:83]// 0000000047A8: D3D70050 0D43B98C
	v_mfma_i32_16x16x32_i8 v[80:83], a[142:143], v[222:223], v[80:83]// 0000000047B0: D3D70050 0D43BD8E
	ds_read_b128 v[180:183], v2 offset:64                      // 0000000047B8: D9FE0040 B4000002
	v_mfma_i32_16x16x32_i8 v[84:87], a[128:129], v[224:225], v[84:87]// 0000000047C0: D3D70054 0D53C180
	v_mfma_i32_16x16x32_i8 v[84:87], a[130:131], v[226:227], v[84:87]// 0000000047C8: D3D70054 0D53C582
	buffer_load_dwordx4 a[40:43], v36, s[24:27], 0 offen offset:2048// 0000000047D0: E05C1800 80862824
	v_mfma_i32_16x16x32_i8 v[84:87], a[132:133], v[228:229], v[84:87]// 0000000047D8: D3D70054 0D53C984
	v_mfma_i32_16x16x32_i8 v[84:87], a[134:135], v[230:231], v[84:87]// 0000000047E0: D3D70054 0D53CD86
	ds_read_b128 v[184:187], v2 offset:128                     // 0000000047E8: D9FE0080 B8000002
	v_mfma_i32_16x16x32_i8 v[84:87], a[136:137], v[232:233], v[84:87]// 0000000047F0: D3D70054 0D53D188
	v_mfma_i32_16x16x32_i8 v[84:87], a[138:139], v[234:235], v[84:87]// 0000000047F8: D3D70054 0D53D58A
	buffer_load_dwordx4 a[44:47], v36, s[24:27], 0 offen offset:3072// 000000004800: E05C1C00 80862C24
	v_mfma_i32_16x16x32_i8 v[84:87], a[140:141], v[236:237], v[84:87]// 000000004808: D3D70054 0D53D98C
	v_mfma_i32_16x16x32_i8 v[84:87], a[142:143], v[238:239], v[84:87]// 000000004810: D3D70054 0D53DD8E
	ds_read_b128 v[188:191], v2 offset:192                     // 000000004818: D9FE00C0 BC000002
	s_waitcnt vmcnt(20)                                        // 000000004820: BF8C4F74
	v_mfma_i32_16x16x32_i8 v[88:91], a[144:145], v[208:209], v[88:91]// 000000004824: D3D70058 0D63A190
	v_mfma_i32_16x16x32_i8 v[88:91], a[146:147], v[210:211], v[88:91]// 00000000482C: D3D70058 0D63A592
	buffer_load_dwordx4 a[48:51], v37, s[24:27], 0 offen       // 000000004834: E05C1000 80863025
	v_mfma_i32_16x16x32_i8 v[88:91], a[148:149], v[212:213], v[88:91]// 00000000483C: D3D70058 0D63A994
	v_mfma_i32_16x16x32_i8 v[88:91], a[150:151], v[214:215], v[88:91]// 000000004844: D3D70058 0D63AD96
	ds_read_b128 v[192:195], v2 offset:1024                    // 00000000484C: D9FE0400 C0000002
	v_mfma_i32_16x16x32_i8 v[88:91], a[152:153], v[216:217], v[88:91]// 000000004854: D3D70058 0D63B198
	v_mfma_i32_16x16x32_i8 v[88:91], a[154:155], v[218:219], v[88:91]// 00000000485C: D3D70058 0D63B59A
	buffer_load_dwordx4 a[52:55], v37, s[24:27], 0 offen offset:1024// 000000004864: E05C1400 80863425
	v_mfma_i32_16x16x32_i8 v[88:91], a[156:157], v[220:221], v[88:91]// 00000000486C: D3D70058 0D63B99C
	v_mfma_i32_16x16x32_i8 v[88:91], a[158:159], v[222:223], v[88:91]// 000000004874: D3D70058 0D63BD9E
	ds_read_b128 v[196:199], v2 offset:1088                    // 00000000487C: D9FE0440 C4000002
	v_mfma_i32_16x16x32_i8 v[92:95], a[144:145], v[224:225], v[92:95]// 000000004884: D3D7005C 0D73C190
	v_mfma_i32_16x16x32_i8 v[92:95], a[146:147], v[226:227], v[92:95]// 00000000488C: D3D7005C 0D73C592
	buffer_load_dwordx4 a[56:59], v37, s[24:27], 0 offen offset:2048// 000000004894: E05C1800 80863825
	v_mfma_i32_16x16x32_i8 v[92:95], a[148:149], v[228:229], v[92:95]// 00000000489C: D3D7005C 0D73C994
	v_mfma_i32_16x16x32_i8 v[92:95], a[150:151], v[230:231], v[92:95]// 0000000048A4: D3D7005C 0D73CD96
	ds_read_b128 v[200:203], v2 offset:1152                    // 0000000048AC: D9FE0480 C8000002
	v_mfma_i32_16x16x32_i8 v[92:95], a[152:153], v[232:233], v[92:95]// 0000000048B4: D3D7005C 0D73D198
	v_mfma_i32_16x16x32_i8 v[92:95], a[154:155], v[234:235], v[92:95]// 0000000048BC: D3D7005C 0D73D59A
	buffer_load_dwordx4 a[60:63], v37, s[24:27], 0 offen offset:3072// 0000000048C4: E05C1C00 80863C25
	v_mfma_i32_16x16x32_i8 v[92:95], a[156:157], v[236:237], v[92:95]// 0000000048CC: D3D7005C 0D73D99C
	v_mfma_i32_16x16x32_i8 v[92:95], a[158:159], v[238:239], v[92:95]// 0000000048D4: D3D7005C 0D73DD9E
	ds_read_b128 v[204:207], v2 offset:1216                    // 0000000048DC: D9FE04C0 CC000002
	s_waitcnt vmcnt(20)                                        // 0000000048E4: BF8C4F74
	v_mfma_i32_16x16x32_i8 v[96:99], a[160:161], v[208:209], v[96:99]// 0000000048E8: D3D70060 0D83A1A0
	v_mfma_i32_16x16x32_i8 v[96:99], a[162:163], v[210:211], v[96:99]// 0000000048F0: D3D70060 0D83A5A2
	buffer_load_dwordx4 a[64:67], v38, s[24:27], 0 offen       // 0000000048F8: E05C1000 80864026
	v_mfma_i32_16x16x32_i8 v[96:99], a[164:165], v[212:213], v[96:99]// 000000004900: D3D70060 0D83A9A4
	v_mfma_i32_16x16x32_i8 v[96:99], a[166:167], v[214:215], v[96:99]// 000000004908: D3D70060 0D83ADA6
	v_mfma_i32_16x16x32_i8 v[96:99], a[168:169], v[216:217], v[96:99]// 000000004910: D3D70060 0D83B1A8
	v_mfma_i32_16x16x32_i8 v[96:99], a[170:171], v[218:219], v[96:99]// 000000004918: D3D70060 0D83B5AA
	buffer_load_dwordx4 a[68:71], v38, s[24:27], 0 offen offset:1024// 000000004920: E05C1400 80864426
	v_mfma_i32_16x16x32_i8 v[96:99], a[172:173], v[220:221], v[96:99]// 000000004928: D3D70060 0D83B9AC
	v_mfma_i32_16x16x32_i8 v[96:99], a[174:175], v[222:223], v[96:99]// 000000004930: D3D70060 0D83BDAE
	v_mfma_i32_16x16x32_i8 v[100:103], a[160:161], v[224:225], v[100:103]// 000000004938: D3D70064 0D93C1A0
	v_mfma_i32_16x16x32_i8 v[100:103], a[162:163], v[226:227], v[100:103]// 000000004940: D3D70064 0D93C5A2
	buffer_load_dwordx4 a[72:75], v38, s[24:27], 0 offen offset:2048// 000000004948: E05C1800 80864826
	v_mfma_i32_16x16x32_i8 v[100:103], a[164:165], v[228:229], v[100:103]// 000000004950: D3D70064 0D93C9A4
	v_mfma_i32_16x16x32_i8 v[100:103], a[166:167], v[230:231], v[100:103]// 000000004958: D3D70064 0D93CDA6
	v_mfma_i32_16x16x32_i8 v[100:103], a[168:169], v[232:233], v[100:103]// 000000004960: D3D70064 0D93D1A8
	v_mfma_i32_16x16x32_i8 v[100:103], a[170:171], v[234:235], v[100:103]// 000000004968: D3D70064 0D93D5AA
	buffer_load_dwordx4 a[76:79], v38, s[24:27], 0 offen offset:3072// 000000004970: E05C1C00 80864C26
	v_mfma_i32_16x16x32_i8 v[100:103], a[172:173], v[236:237], v[100:103]// 000000004978: D3D70064 0D93D9AC
	v_mfma_i32_16x16x32_i8 v[100:103], a[174:175], v[238:239], v[100:103]// 000000004980: D3D70064 0D93DDAE
	s_waitcnt vmcnt(20)                                        // 000000004988: BF8C4F74
	v_mfma_i32_16x16x32_i8 v[104:107], a[176:177], v[208:209], v[104:107]// 00000000498C: D3D70068 0DA3A1B0
	v_mfma_i32_16x16x32_i8 v[104:107], a[178:179], v[210:211], v[104:107]// 000000004994: D3D70068 0DA3A5B2
	buffer_load_dwordx4 a[80:83], v39, s[24:27], 0 offen       // 00000000499C: E05C1000 80865027
	v_mfma_i32_16x16x32_i8 v[104:107], a[180:181], v[212:213], v[104:107]// 0000000049A4: D3D70068 0DA3A9B4
	v_mfma_i32_16x16x32_i8 v[104:107], a[182:183], v[214:215], v[104:107]// 0000000049AC: D3D70068 0DA3ADB6
	v_mfma_i32_16x16x32_i8 v[104:107], a[184:185], v[216:217], v[104:107]// 0000000049B4: D3D70068 0DA3B1B8
	v_mfma_i32_16x16x32_i8 v[104:107], a[186:187], v[218:219], v[104:107]// 0000000049BC: D3D70068 0DA3B5BA
	buffer_load_dwordx4 a[84:87], v39, s[24:27], 0 offen offset:1024// 0000000049C4: E05C1400 80865427
	v_mfma_i32_16x16x32_i8 v[104:107], a[188:189], v[220:221], v[104:107]// 0000000049CC: D3D70068 0DA3B9BC
	v_mfma_i32_16x16x32_i8 v[104:107], a[190:191], v[222:223], v[104:107]// 0000000049D4: D3D70068 0DA3BDBE
	v_mfma_i32_16x16x32_i8 v[108:111], a[176:177], v[224:225], v[108:111]// 0000000049DC: D3D7006C 0DB3C1B0
	v_mfma_i32_16x16x32_i8 v[108:111], a[178:179], v[226:227], v[108:111]// 0000000049E4: D3D7006C 0DB3C5B2
	buffer_load_dwordx4 a[88:91], v39, s[24:27], 0 offen offset:2048// 0000000049EC: E05C1800 80865827
	v_mfma_i32_16x16x32_i8 v[108:111], a[180:181], v[228:229], v[108:111]// 0000000049F4: D3D7006C 0DB3C9B4
	v_mfma_i32_16x16x32_i8 v[108:111], a[182:183], v[230:231], v[108:111]// 0000000049FC: D3D7006C 0DB3CDB6
	v_mfma_i32_16x16x32_i8 v[108:111], a[184:185], v[232:233], v[108:111]// 000000004A04: D3D7006C 0DB3D1B8
	v_mfma_i32_16x16x32_i8 v[108:111], a[186:187], v[234:235], v[108:111]// 000000004A0C: D3D7006C 0DB3D5BA
	buffer_load_dwordx4 a[92:95], v39, s[24:27], 0 offen offset:3072// 000000004A14: E05C1C00 80865C27
	v_mfma_i32_16x16x32_i8 v[108:111], a[188:189], v[236:237], v[108:111]// 000000004A1C: D3D7006C 0DB3D9BC
	v_mfma_i32_16x16x32_i8 v[108:111], a[190:191], v[238:239], v[108:111]// 000000004A24: D3D7006C 0DB3DDBE
	s_add_u32 s60, 0x200, s80                                  // 000000004A2C: 803C50FF 00000200
	s_cmp_lt_u32 s60, s81                                      // 000000004A34: BF0A513C
	s_cselect_b32 s57, s57, 0                                  // 000000004A38: 85398039
	s_add_u32 s60, 0x200, s80                                  // 000000004A3C: 803C50FF 00000200
	s_cmp_lt_u32 s60, s81                                      // 000000004A44: BF0A513C
	s_cselect_b32 s58, s58, 0                                  // 000000004A48: 853A803A
	s_add_u32 s20, s57, s20                                    // 000000004A4C: 80141439
	s_addc_u32 s21, 0, s21                                     // 000000004A50: 82151580
	s_add_u32 s24, s58, s24                                    // 000000004A54: 8018183A
	s_addc_u32 s25, 0, s25                                     // 000000004A58: 82191980
	s_add_u32 s92, s90, s92                                    // 000000004A5C: 805C5C5A
	s_addc_u32 s93, 0, s93                                     // 000000004A60: 825D5D80
	s_addk_i32 s80, 0x100                                      // 000000004A64: B7500100
	s_cmp_lt_i32 s80, s81                                      // 000000004A68: BF045150
	s_cbranch_scc0 label_071D                                  // 000000004A6C: BF840001
	s_branch label_02C4                                        // 000000004A70: BF82FBA7

0000000000004a74 <label_071D>:
	s_mov_b32 s36, -1                                          // 000000004A74: BEA400C1
	s_mov_b32 s37, -1                                          // 000000004A78: BEA500C1
	s_mov_b64 s[60:61], 0                                      // 000000004A7C: BEBC0180
	s_cmp_lt_u32 s82, s66                                      // 000000004A80: BF0A4252
	s_cselect_b64 s[20:21], s[36:37], s[60:61]                 // 000000004A84: 85943C24
	s_cmp_lt_u32 s83, s66                                      // 000000004A88: BF0A4253
	s_cselect_b64 s[22:23], s[36:37], s[60:61]                 // 000000004A8C: 85963C24
	s_cmp_lt_u32 s84, s66                                      // 000000004A90: BF0A4254
	s_cselect_b64 s[24:25], s[36:37], s[60:61]                 // 000000004A94: 85983C24
	s_cmp_lt_u32 s85, s66                                      // 000000004A98: BF0A4255
	s_cselect_b64 s[26:27], s[36:37], s[60:61]                 // 000000004A9C: 859A3C24
	s_cmp_lt_u32 s86, s66                                      // 000000004AA0: BF0A4256
	s_cselect_b64 s[28:29], s[36:37], s[60:61]                 // 000000004AA4: 859C3C24
	s_cmp_lt_u32 s87, s66                                      // 000000004AA8: BF0A4257
	s_cselect_b64 s[30:31], s[36:37], s[60:61]                 // 000000004AAC: 859E3C24
	s_cmp_lt_u32 s88, s66                                      // 000000004AB0: BF0A4258
	s_cselect_b64 s[32:33], s[36:37], s[60:61]                 // 000000004AB4: 85A03C24
	s_cmp_lt_u32 s89, s66                                      // 000000004AB8: BF0A4259
	s_cselect_b64 s[34:35], s[36:37], s[60:61]                 // 000000004ABC: 85A23C24
	v_cvt_f32_i32_e32 v128, v128                               // 000000004AC0: 7F000B80
	v_cvt_f32_i32_e32 v129, v129                               // 000000004AC4: 7F020B81
	v_cvt_f32_i32_e32 v130, v130                               // 000000004AC8: 7F040B82
	v_cvt_f32_i32_e32 v131, v131                               // 000000004ACC: 7F060B83
	v_mul_f32_e32 v128, v14, v128                              // 000000004AD0: 0B01010E
	v_mul_f32_e32 v129, v14, v129                              // 000000004AD4: 0B03030E
	v_mul_f32_e32 v130, v14, v130                              // 000000004AD8: 0B05050E
	v_mul_f32_e32 v131, v14, v131                              // 000000004ADC: 0B07070E
	v_mul_f32_dpp v128, v16, v128 row_newbcast:0 row_mask:0xf bank_mask:0xf// 000000004AE0: 0B0100FA FF015010
	v_mul_f32_dpp v129, v16, v129 row_newbcast:1 row_mask:0xf bank_mask:0xf// 000000004AE8: 0B0302FA FF015110
	v_mul_f32_dpp v130, v16, v130 row_newbcast:2 row_mask:0xf bank_mask:0xf// 000000004AF0: 0B0504FA FF015210
	v_mul_f32_dpp v131, v16, v131 row_newbcast:3 row_mask:0xf bank_mask:0xf// 000000004AF8: 0B0706FA FF015310
	v_cvt_f32_i32_e32 v132, v132                               // 000000004B00: 7F080B84
	v_cvt_f32_i32_e32 v133, v133                               // 000000004B04: 7F0A0B85
	v_cvt_f32_i32_e32 v134, v134                               // 000000004B08: 7F0C0B86
	v_cvt_f32_i32_e32 v135, v135                               // 000000004B0C: 7F0E0B87
	v_mul_f32_e32 v132, v15, v132                              // 000000004B10: 0B09090F
	v_mul_f32_e32 v133, v15, v133                              // 000000004B14: 0B0B0B0F
	v_mul_f32_e32 v134, v15, v134                              // 000000004B18: 0B0D0D0F
	v_mul_f32_e32 v135, v15, v135                              // 000000004B1C: 0B0F0F0F
	v_mul_f32_dpp v132, v16, v132 row_newbcast:0 row_mask:0xf bank_mask:0xf// 000000004B20: 0B0908FA FF015010
	v_mul_f32_dpp v133, v16, v133 row_newbcast:1 row_mask:0xf bank_mask:0xf// 000000004B28: 0B0B0AFA FF015110
	v_mul_f32_dpp v134, v16, v134 row_newbcast:2 row_mask:0xf bank_mask:0xf// 000000004B30: 0B0D0CFA FF015210
	v_mul_f32_dpp v135, v16, v135 row_newbcast:3 row_mask:0xf bank_mask:0xf// 000000004B38: 0B0F0EFA FF015310
	v_cvt_f32_i32_e32 v136, v136                               // 000000004B40: 7F100B88
	v_cvt_f32_i32_e32 v137, v137                               // 000000004B44: 7F120B89
	v_cvt_f32_i32_e32 v138, v138                               // 000000004B48: 7F140B8A
	v_cvt_f32_i32_e32 v139, v139                               // 000000004B4C: 7F160B8B
	v_mul_f32_e32 v136, v14, v136                              // 000000004B50: 0B11110E
	v_mul_f32_e32 v137, v14, v137                              // 000000004B54: 0B13130E
	v_mul_f32_e32 v138, v14, v138                              // 000000004B58: 0B15150E
	v_mul_f32_e32 v139, v14, v139                              // 000000004B5C: 0B17170E
	v_mul_f32_dpp v136, v16, v136 row_newbcast:4 row_mask:0xf bank_mask:0xf// 000000004B60: 0B1110FA FF015410
	v_mul_f32_dpp v137, v16, v137 row_newbcast:5 row_mask:0xf bank_mask:0xf// 000000004B68: 0B1312FA FF015510
	v_mul_f32_dpp v138, v16, v138 row_newbcast:6 row_mask:0xf bank_mask:0xf// 000000004B70: 0B1514FA FF015610
	v_mul_f32_dpp v139, v16, v139 row_newbcast:7 row_mask:0xf bank_mask:0xf// 000000004B78: 0B1716FA FF015710
	v_cvt_f32_i32_e32 v140, v140                               // 000000004B80: 7F180B8C
	v_cvt_f32_i32_e32 v141, v141                               // 000000004B84: 7F1A0B8D
	v_cvt_f32_i32_e32 v142, v142                               // 000000004B88: 7F1C0B8E
	v_cvt_f32_i32_e32 v143, v143                               // 000000004B8C: 7F1E0B8F
	v_mul_f32_e32 v140, v15, v140                              // 000000004B90: 0B19190F
	v_mul_f32_e32 v141, v15, v141                              // 000000004B94: 0B1B1B0F
	v_mul_f32_e32 v142, v15, v142                              // 000000004B98: 0B1D1D0F
	v_mul_f32_e32 v143, v15, v143                              // 000000004B9C: 0B1F1F0F
	v_mul_f32_dpp v140, v16, v140 row_newbcast:4 row_mask:0xf bank_mask:0xf// 000000004BA0: 0B1918FA FF015410
	v_mul_f32_dpp v141, v16, v141 row_newbcast:5 row_mask:0xf bank_mask:0xf// 000000004BA8: 0B1B1AFA FF015510
	v_mul_f32_dpp v142, v16, v142 row_newbcast:6 row_mask:0xf bank_mask:0xf// 000000004BB0: 0B1D1CFA FF015610
	v_mul_f32_dpp v143, v16, v143 row_newbcast:7 row_mask:0xf bank_mask:0xf// 000000004BB8: 0B1F1EFA FF015710
	v_cvt_f32_i32_e32 v144, v144                               // 000000004BC0: 7F200B90
	v_cvt_f32_i32_e32 v145, v145                               // 000000004BC4: 7F220B91
	v_cvt_f32_i32_e32 v146, v146                               // 000000004BC8: 7F240B92
	v_cvt_f32_i32_e32 v147, v147                               // 000000004BCC: 7F260B93
	v_mul_f32_e32 v144, v14, v144                              // 000000004BD0: 0B21210E
	v_mul_f32_e32 v145, v14, v145                              // 000000004BD4: 0B23230E
	v_mul_f32_e32 v146, v14, v146                              // 000000004BD8: 0B25250E
	v_mul_f32_e32 v147, v14, v147                              // 000000004BDC: 0B27270E
	v_mul_f32_dpp v144, v16, v144 row_newbcast:8 row_mask:0xf bank_mask:0xf// 000000004BE0: 0B2120FA FF015810
	v_mul_f32_dpp v145, v16, v145 row_newbcast:9 row_mask:0xf bank_mask:0xf// 000000004BE8: 0B2322FA FF015910
	v_mul_f32_dpp v146, v16, v146 row_newbcast:10 row_mask:0xf bank_mask:0xf// 000000004BF0: 0B2524FA FF015A10
	v_mul_f32_dpp v147, v16, v147 row_newbcast:11 row_mask:0xf bank_mask:0xf// 000000004BF8: 0B2726FA FF015B10
	v_cvt_f32_i32_e32 v148, v148                               // 000000004C00: 7F280B94
	v_cvt_f32_i32_e32 v149, v149                               // 000000004C04: 7F2A0B95
	v_cvt_f32_i32_e32 v150, v150                               // 000000004C08: 7F2C0B96
	v_cvt_f32_i32_e32 v151, v151                               // 000000004C0C: 7F2E0B97
	v_mul_f32_e32 v148, v15, v148                              // 000000004C10: 0B29290F
	v_mul_f32_e32 v149, v15, v149                              // 000000004C14: 0B2B2B0F
	v_mul_f32_e32 v150, v15, v150                              // 000000004C18: 0B2D2D0F
	v_mul_f32_e32 v151, v15, v151                              // 000000004C1C: 0B2F2F0F
	v_mul_f32_dpp v148, v16, v148 row_newbcast:8 row_mask:0xf bank_mask:0xf// 000000004C20: 0B2928FA FF015810
	v_mul_f32_dpp v149, v16, v149 row_newbcast:9 row_mask:0xf bank_mask:0xf// 000000004C28: 0B2B2AFA FF015910
	v_mul_f32_dpp v150, v16, v150 row_newbcast:10 row_mask:0xf bank_mask:0xf// 000000004C30: 0B2D2CFA FF015A10
	v_mul_f32_dpp v151, v16, v151 row_newbcast:11 row_mask:0xf bank_mask:0xf// 000000004C38: 0B2F2EFA FF015B10
	v_cvt_f32_i32_e32 v152, v152                               // 000000004C40: 7F300B98
	v_cvt_f32_i32_e32 v153, v153                               // 000000004C44: 7F320B99
	v_cvt_f32_i32_e32 v154, v154                               // 000000004C48: 7F340B9A
	v_cvt_f32_i32_e32 v155, v155                               // 000000004C4C: 7F360B9B
	v_mul_f32_e32 v152, v14, v152                              // 000000004C50: 0B31310E
	v_mul_f32_e32 v153, v14, v153                              // 000000004C54: 0B33330E
	v_mul_f32_e32 v154, v14, v154                              // 000000004C58: 0B35350E
	v_mul_f32_e32 v155, v14, v155                              // 000000004C5C: 0B37370E
	v_mul_f32_dpp v152, v16, v152 row_newbcast:12 row_mask:0xf bank_mask:0xf// 000000004C60: 0B3130FA FF015C10
	v_mul_f32_dpp v153, v16, v153 row_newbcast:13 row_mask:0xf bank_mask:0xf// 000000004C68: 0B3332FA FF015D10
	v_mul_f32_dpp v154, v16, v154 row_newbcast:14 row_mask:0xf bank_mask:0xf// 000000004C70: 0B3534FA FF015E10
	v_mul_f32_dpp v155, v16, v155 row_newbcast:15 row_mask:0xf bank_mask:0xf// 000000004C78: 0B3736FA FF015F10
	v_cvt_f32_i32_e32 v156, v156                               // 000000004C80: 7F380B9C
	v_cvt_f32_i32_e32 v157, v157                               // 000000004C84: 7F3A0B9D
	v_cvt_f32_i32_e32 v158, v158                               // 000000004C88: 7F3C0B9E
	v_cvt_f32_i32_e32 v159, v159                               // 000000004C8C: 7F3E0B9F
	v_mul_f32_e32 v156, v15, v156                              // 000000004C90: 0B39390F
	v_mul_f32_e32 v157, v15, v157                              // 000000004C94: 0B3B3B0F
	v_mul_f32_e32 v158, v15, v158                              // 000000004C98: 0B3D3D0F
	v_mul_f32_e32 v159, v15, v159                              // 000000004C9C: 0B3F3F0F
	v_mul_f32_dpp v156, v16, v156 row_newbcast:12 row_mask:0xf bank_mask:0xf// 000000004CA0: 0B3938FA FF015C10
	v_mul_f32_dpp v157, v16, v157 row_newbcast:13 row_mask:0xf bank_mask:0xf// 000000004CA8: 0B3B3AFA FF015D10
	v_mul_f32_dpp v158, v16, v158 row_newbcast:14 row_mask:0xf bank_mask:0xf// 000000004CB0: 0B3D3CFA FF015E10
	v_mul_f32_dpp v159, v16, v159 row_newbcast:15 row_mask:0xf bank_mask:0xf// 000000004CB8: 0B3F3EFA FF015F10
	v_cvt_f32_i32_e32 v160, v160                               // 000000004CC0: 7F400BA0
	v_cvt_f32_i32_e32 v161, v161                               // 000000004CC4: 7F420BA1
	v_cvt_f32_i32_e32 v162, v162                               // 000000004CC8: 7F440BA2
	v_cvt_f32_i32_e32 v163, v163                               // 000000004CCC: 7F460BA3
	v_mul_f32_e32 v160, v14, v160                              // 000000004CD0: 0B41410E
	v_mul_f32_e32 v161, v14, v161                              // 000000004CD4: 0B43430E
	v_mul_f32_e32 v162, v14, v162                              // 000000004CD8: 0B45450E
	v_mul_f32_e32 v163, v14, v163                              // 000000004CDC: 0B47470E
	v_mul_f32_dpp v160, v17, v160 row_newbcast:0 row_mask:0xf bank_mask:0xf// 000000004CE0: 0B4140FA FF015011
	v_mul_f32_dpp v161, v17, v161 row_newbcast:1 row_mask:0xf bank_mask:0xf// 000000004CE8: 0B4342FA FF015111
	v_mul_f32_dpp v162, v17, v162 row_newbcast:2 row_mask:0xf bank_mask:0xf// 000000004CF0: 0B4544FA FF015211
	v_mul_f32_dpp v163, v17, v163 row_newbcast:3 row_mask:0xf bank_mask:0xf// 000000004CF8: 0B4746FA FF015311
	v_cvt_f32_i32_e32 v164, v164                               // 000000004D00: 7F480BA4
	v_cvt_f32_i32_e32 v165, v165                               // 000000004D04: 7F4A0BA5
	v_cvt_f32_i32_e32 v166, v166                               // 000000004D08: 7F4C0BA6
	v_cvt_f32_i32_e32 v167, v167                               // 000000004D0C: 7F4E0BA7
	v_mul_f32_e32 v164, v15, v164                              // 000000004D10: 0B49490F
	v_mul_f32_e32 v165, v15, v165                              // 000000004D14: 0B4B4B0F
	v_mul_f32_e32 v166, v15, v166                              // 000000004D18: 0B4D4D0F
	v_mul_f32_e32 v167, v15, v167                              // 000000004D1C: 0B4F4F0F
	v_mul_f32_dpp v164, v17, v164 row_newbcast:0 row_mask:0xf bank_mask:0xf// 000000004D20: 0B4948FA FF015011
	v_mul_f32_dpp v165, v17, v165 row_newbcast:1 row_mask:0xf bank_mask:0xf// 000000004D28: 0B4B4AFA FF015111
	v_mul_f32_dpp v166, v17, v166 row_newbcast:2 row_mask:0xf bank_mask:0xf// 000000004D30: 0B4D4CFA FF015211
	v_mul_f32_dpp v167, v17, v167 row_newbcast:3 row_mask:0xf bank_mask:0xf// 000000004D38: 0B4F4EFA FF015311
	v_cvt_f32_i32_e32 v168, v168                               // 000000004D40: 7F500BA8
	v_cvt_f32_i32_e32 v169, v169                               // 000000004D44: 7F520BA9
	v_cvt_f32_i32_e32 v170, v170                               // 000000004D48: 7F540BAA
	v_cvt_f32_i32_e32 v171, v171                               // 000000004D4C: 7F560BAB
	v_mul_f32_e32 v168, v14, v168                              // 000000004D50: 0B51510E
	v_mul_f32_e32 v169, v14, v169                              // 000000004D54: 0B53530E
	v_mul_f32_e32 v170, v14, v170                              // 000000004D58: 0B55550E
	v_mul_f32_e32 v171, v14, v171                              // 000000004D5C: 0B57570E
	v_mul_f32_dpp v168, v17, v168 row_newbcast:4 row_mask:0xf bank_mask:0xf// 000000004D60: 0B5150FA FF015411
	v_mul_f32_dpp v169, v17, v169 row_newbcast:5 row_mask:0xf bank_mask:0xf// 000000004D68: 0B5352FA FF015511
	v_mul_f32_dpp v170, v17, v170 row_newbcast:6 row_mask:0xf bank_mask:0xf// 000000004D70: 0B5554FA FF015611
	v_mul_f32_dpp v171, v17, v171 row_newbcast:7 row_mask:0xf bank_mask:0xf// 000000004D78: 0B5756FA FF015711
	v_cvt_f32_i32_e32 v172, v172                               // 000000004D80: 7F580BAC
	v_cvt_f32_i32_e32 v173, v173                               // 000000004D84: 7F5A0BAD
	v_cvt_f32_i32_e32 v174, v174                               // 000000004D88: 7F5C0BAE
	v_cvt_f32_i32_e32 v175, v175                               // 000000004D8C: 7F5E0BAF
	v_mul_f32_e32 v172, v15, v172                              // 000000004D90: 0B59590F
	v_mul_f32_e32 v173, v15, v173                              // 000000004D94: 0B5B5B0F
	v_mul_f32_e32 v174, v15, v174                              // 000000004D98: 0B5D5D0F
	v_mul_f32_e32 v175, v15, v175                              // 000000004D9C: 0B5F5F0F
	v_mul_f32_dpp v172, v17, v172 row_newbcast:4 row_mask:0xf bank_mask:0xf// 000000004DA0: 0B5958FA FF015411
	v_mul_f32_dpp v173, v17, v173 row_newbcast:5 row_mask:0xf bank_mask:0xf// 000000004DA8: 0B5B5AFA FF015511
	v_mul_f32_dpp v174, v17, v174 row_newbcast:6 row_mask:0xf bank_mask:0xf// 000000004DB0: 0B5D5CFA FF015611
	v_mul_f32_dpp v175, v17, v175 row_newbcast:7 row_mask:0xf bank_mask:0xf// 000000004DB8: 0B5F5EFA FF015711
	v_cvt_f32_i32_e32 v64, v64                                 // 000000004DC0: 7E800B40
	v_cvt_f32_i32_e32 v65, v65                                 // 000000004DC4: 7E820B41
	v_cvt_f32_i32_e32 v66, v66                                 // 000000004DC8: 7E840B42
	v_cvt_f32_i32_e32 v67, v67                                 // 000000004DCC: 7E860B43
	v_mul_f32_e32 v64, v14, v64                                // 000000004DD0: 0A80810E
	v_mul_f32_e32 v65, v14, v65                                // 000000004DD4: 0A82830E
	v_mul_f32_e32 v66, v14, v66                                // 000000004DD8: 0A84850E
	v_mul_f32_e32 v67, v14, v67                                // 000000004DDC: 0A86870E
	v_mul_f32_dpp v64, v48, v64 row_newbcast:0 row_mask:0xf bank_mask:0xf// 000000004DE0: 0A8080FA FF015030
	v_mul_f32_dpp v65, v48, v65 row_newbcast:1 row_mask:0xf bank_mask:0xf// 000000004DE8: 0A8282FA FF015130
	v_mul_f32_dpp v66, v48, v66 row_newbcast:2 row_mask:0xf bank_mask:0xf// 000000004DF0: 0A8484FA FF015230
	v_mul_f32_dpp v67, v48, v67 row_newbcast:3 row_mask:0xf bank_mask:0xf// 000000004DF8: 0A8686FA FF015330
	v_cvt_f32_i32_e32 v68, v68                                 // 000000004E00: 7E880B44
	v_cvt_f32_i32_e32 v69, v69                                 // 000000004E04: 7E8A0B45
	v_cvt_f32_i32_e32 v70, v70                                 // 000000004E08: 7E8C0B46
	v_cvt_f32_i32_e32 v71, v71                                 // 000000004E0C: 7E8E0B47
	v_mul_f32_e32 v68, v15, v68                                // 000000004E10: 0A88890F
	v_mul_f32_e32 v69, v15, v69                                // 000000004E14: 0A8A8B0F
	v_mul_f32_e32 v70, v15, v70                                // 000000004E18: 0A8C8D0F
	v_mul_f32_e32 v71, v15, v71                                // 000000004E1C: 0A8E8F0F
	v_mul_f32_dpp v68, v48, v68 row_newbcast:0 row_mask:0xf bank_mask:0xf// 000000004E20: 0A8888FA FF015030
	v_mul_f32_dpp v69, v48, v69 row_newbcast:1 row_mask:0xf bank_mask:0xf// 000000004E28: 0A8A8AFA FF015130
	v_mul_f32_dpp v70, v48, v70 row_newbcast:2 row_mask:0xf bank_mask:0xf// 000000004E30: 0A8C8CFA FF015230
	v_mul_f32_dpp v71, v48, v71 row_newbcast:3 row_mask:0xf bank_mask:0xf// 000000004E38: 0A8E8EFA FF015330
	v_cvt_f32_i32_e32 v72, v72                                 // 000000004E40: 7E900B48
	v_cvt_f32_i32_e32 v73, v73                                 // 000000004E44: 7E920B49
	v_cvt_f32_i32_e32 v74, v74                                 // 000000004E48: 7E940B4A
	v_cvt_f32_i32_e32 v75, v75                                 // 000000004E4C: 7E960B4B
	v_mul_f32_e32 v72, v14, v72                                // 000000004E50: 0A90910E
	v_mul_f32_e32 v73, v14, v73                                // 000000004E54: 0A92930E
	v_mul_f32_e32 v74, v14, v74                                // 000000004E58: 0A94950E
	v_mul_f32_e32 v75, v14, v75                                // 000000004E5C: 0A96970E
	v_mul_f32_dpp v72, v48, v72 row_newbcast:4 row_mask:0xf bank_mask:0xf// 000000004E60: 0A9090FA FF015430
	v_mul_f32_dpp v73, v48, v73 row_newbcast:5 row_mask:0xf bank_mask:0xf// 000000004E68: 0A9292FA FF015530
	v_mul_f32_dpp v74, v48, v74 row_newbcast:6 row_mask:0xf bank_mask:0xf// 000000004E70: 0A9494FA FF015630
	v_mul_f32_dpp v75, v48, v75 row_newbcast:7 row_mask:0xf bank_mask:0xf// 000000004E78: 0A9696FA FF015730
	v_cvt_f32_i32_e32 v76, v76                                 // 000000004E80: 7E980B4C
	v_cvt_f32_i32_e32 v77, v77                                 // 000000004E84: 7E9A0B4D
	v_cvt_f32_i32_e32 v78, v78                                 // 000000004E88: 7E9C0B4E
	v_cvt_f32_i32_e32 v79, v79                                 // 000000004E8C: 7E9E0B4F
	v_mul_f32_e32 v76, v15, v76                                // 000000004E90: 0A98990F
	v_mul_f32_e32 v77, v15, v77                                // 000000004E94: 0A9A9B0F
	v_mul_f32_e32 v78, v15, v78                                // 000000004E98: 0A9C9D0F
	v_mul_f32_e32 v79, v15, v79                                // 000000004E9C: 0A9E9F0F
	v_mul_f32_dpp v76, v48, v76 row_newbcast:4 row_mask:0xf bank_mask:0xf// 000000004EA0: 0A9898FA FF015430
	v_mul_f32_dpp v77, v48, v77 row_newbcast:5 row_mask:0xf bank_mask:0xf// 000000004EA8: 0A9A9AFA FF015530
	v_mul_f32_dpp v78, v48, v78 row_newbcast:6 row_mask:0xf bank_mask:0xf// 000000004EB0: 0A9C9CFA FF015630
	v_mul_f32_dpp v79, v48, v79 row_newbcast:7 row_mask:0xf bank_mask:0xf// 000000004EB8: 0A9E9EFA FF015730
	v_cvt_f32_i32_e32 v80, v80                                 // 000000004EC0: 7EA00B50
	v_cvt_f32_i32_e32 v81, v81                                 // 000000004EC4: 7EA20B51
	v_cvt_f32_i32_e32 v82, v82                                 // 000000004EC8: 7EA40B52
	v_cvt_f32_i32_e32 v83, v83                                 // 000000004ECC: 7EA60B53
	v_mul_f32_e32 v80, v14, v80                                // 000000004ED0: 0AA0A10E
	v_mul_f32_e32 v81, v14, v81                                // 000000004ED4: 0AA2A30E
	v_mul_f32_e32 v82, v14, v82                                // 000000004ED8: 0AA4A50E
	v_mul_f32_e32 v83, v14, v83                                // 000000004EDC: 0AA6A70E
	v_mul_f32_dpp v80, v48, v80 row_newbcast:8 row_mask:0xf bank_mask:0xf// 000000004EE0: 0AA0A0FA FF015830
	v_mul_f32_dpp v81, v48, v81 row_newbcast:9 row_mask:0xf bank_mask:0xf// 000000004EE8: 0AA2A2FA FF015930
	v_mul_f32_dpp v82, v48, v82 row_newbcast:10 row_mask:0xf bank_mask:0xf// 000000004EF0: 0AA4A4FA FF015A30
	v_mul_f32_dpp v83, v48, v83 row_newbcast:11 row_mask:0xf bank_mask:0xf// 000000004EF8: 0AA6A6FA FF015B30
	v_cvt_f32_i32_e32 v84, v84                                 // 000000004F00: 7EA80B54
	v_cvt_f32_i32_e32 v85, v85                                 // 000000004F04: 7EAA0B55
	v_cvt_f32_i32_e32 v86, v86                                 // 000000004F08: 7EAC0B56
	v_cvt_f32_i32_e32 v87, v87                                 // 000000004F0C: 7EAE0B57
	v_mul_f32_e32 v84, v15, v84                                // 000000004F10: 0AA8A90F
	v_mul_f32_e32 v85, v15, v85                                // 000000004F14: 0AAAAB0F
	v_mul_f32_e32 v86, v15, v86                                // 000000004F18: 0AACAD0F
	v_mul_f32_e32 v87, v15, v87                                // 000000004F1C: 0AAEAF0F
	v_mul_f32_dpp v84, v48, v84 row_newbcast:8 row_mask:0xf bank_mask:0xf// 000000004F20: 0AA8A8FA FF015830
	v_mul_f32_dpp v85, v48, v85 row_newbcast:9 row_mask:0xf bank_mask:0xf// 000000004F28: 0AAAAAFA FF015930
	v_mul_f32_dpp v86, v48, v86 row_newbcast:10 row_mask:0xf bank_mask:0xf// 000000004F30: 0AACACFA FF015A30
	v_mul_f32_dpp v87, v48, v87 row_newbcast:11 row_mask:0xf bank_mask:0xf// 000000004F38: 0AAEAEFA FF015B30
	v_cvt_f32_i32_e32 v88, v88                                 // 000000004F40: 7EB00B58
	v_cvt_f32_i32_e32 v89, v89                                 // 000000004F44: 7EB20B59
	v_cvt_f32_i32_e32 v90, v90                                 // 000000004F48: 7EB40B5A
	v_cvt_f32_i32_e32 v91, v91                                 // 000000004F4C: 7EB60B5B
	v_mul_f32_e32 v88, v14, v88                                // 000000004F50: 0AB0B10E
	v_mul_f32_e32 v89, v14, v89                                // 000000004F54: 0AB2B30E
	v_mul_f32_e32 v90, v14, v90                                // 000000004F58: 0AB4B50E
	v_mul_f32_e32 v91, v14, v91                                // 000000004F5C: 0AB6B70E
	v_mul_f32_dpp v88, v48, v88 row_newbcast:12 row_mask:0xf bank_mask:0xf// 000000004F60: 0AB0B0FA FF015C30
	v_mul_f32_dpp v89, v48, v89 row_newbcast:13 row_mask:0xf bank_mask:0xf// 000000004F68: 0AB2B2FA FF015D30
	v_mul_f32_dpp v90, v48, v90 row_newbcast:14 row_mask:0xf bank_mask:0xf// 000000004F70: 0AB4B4FA FF015E30
	v_mul_f32_dpp v91, v48, v91 row_newbcast:15 row_mask:0xf bank_mask:0xf// 000000004F78: 0AB6B6FA FF015F30
	v_cvt_f32_i32_e32 v92, v92                                 // 000000004F80: 7EB80B5C
	v_cvt_f32_i32_e32 v93, v93                                 // 000000004F84: 7EBA0B5D
	v_cvt_f32_i32_e32 v94, v94                                 // 000000004F88: 7EBC0B5E
	v_cvt_f32_i32_e32 v95, v95                                 // 000000004F8C: 7EBE0B5F
	v_mul_f32_e32 v92, v15, v92                                // 000000004F90: 0AB8B90F
	v_mul_f32_e32 v93, v15, v93                                // 000000004F94: 0ABABB0F
	v_mul_f32_e32 v94, v15, v94                                // 000000004F98: 0ABCBD0F
	v_mul_f32_e32 v95, v15, v95                                // 000000004F9C: 0ABEBF0F
	v_mul_f32_dpp v92, v48, v92 row_newbcast:12 row_mask:0xf bank_mask:0xf// 000000004FA0: 0AB8B8FA FF015C30
	v_mul_f32_dpp v93, v48, v93 row_newbcast:13 row_mask:0xf bank_mask:0xf// 000000004FA8: 0ABABAFA FF015D30
	v_mul_f32_dpp v94, v48, v94 row_newbcast:14 row_mask:0xf bank_mask:0xf// 000000004FB0: 0ABCBCFA FF015E30
	v_mul_f32_dpp v95, v48, v95 row_newbcast:15 row_mask:0xf bank_mask:0xf// 000000004FB8: 0ABEBEFA FF015F30
	v_cvt_f32_i32_e32 v96, v96                                 // 000000004FC0: 7EC00B60
	v_cvt_f32_i32_e32 v97, v97                                 // 000000004FC4: 7EC20B61
	v_cvt_f32_i32_e32 v98, v98                                 // 000000004FC8: 7EC40B62
	v_cvt_f32_i32_e32 v99, v99                                 // 000000004FCC: 7EC60B63
	v_mul_f32_e32 v96, v14, v96                                // 000000004FD0: 0AC0C10E
	v_mul_f32_e32 v97, v14, v97                                // 000000004FD4: 0AC2C30E
	v_mul_f32_e32 v98, v14, v98                                // 000000004FD8: 0AC4C50E
	v_mul_f32_e32 v99, v14, v99                                // 000000004FDC: 0AC6C70E
	v_mul_f32_dpp v96, v49, v96 row_newbcast:0 row_mask:0xf bank_mask:0xf// 000000004FE0: 0AC0C0FA FF015031
	v_mul_f32_dpp v97, v49, v97 row_newbcast:1 row_mask:0xf bank_mask:0xf// 000000004FE8: 0AC2C2FA FF015131
	v_mul_f32_dpp v98, v49, v98 row_newbcast:2 row_mask:0xf bank_mask:0xf// 000000004FF0: 0AC4C4FA FF015231
	v_mul_f32_dpp v99, v49, v99 row_newbcast:3 row_mask:0xf bank_mask:0xf// 000000004FF8: 0AC6C6FA FF015331
	v_cvt_f32_i32_e32 v100, v100                               // 000000005000: 7EC80B64
	v_cvt_f32_i32_e32 v101, v101                               // 000000005004: 7ECA0B65
	v_cvt_f32_i32_e32 v102, v102                               // 000000005008: 7ECC0B66
	v_cvt_f32_i32_e32 v103, v103                               // 00000000500C: 7ECE0B67
	v_mul_f32_e32 v100, v15, v100                              // 000000005010: 0AC8C90F
	v_mul_f32_e32 v101, v15, v101                              // 000000005014: 0ACACB0F
	v_mul_f32_e32 v102, v15, v102                              // 000000005018: 0ACCCD0F
	v_mul_f32_e32 v103, v15, v103                              // 00000000501C: 0ACECF0F
	v_mul_f32_dpp v100, v49, v100 row_newbcast:0 row_mask:0xf bank_mask:0xf// 000000005020: 0AC8C8FA FF015031
	v_mul_f32_dpp v101, v49, v101 row_newbcast:1 row_mask:0xf bank_mask:0xf// 000000005028: 0ACACAFA FF015131
	v_mul_f32_dpp v102, v49, v102 row_newbcast:2 row_mask:0xf bank_mask:0xf// 000000005030: 0ACCCCFA FF015231
	v_mul_f32_dpp v103, v49, v103 row_newbcast:3 row_mask:0xf bank_mask:0xf// 000000005038: 0ACECEFA FF015331
	v_cvt_f32_i32_e32 v104, v104                               // 000000005040: 7ED00B68
	v_cvt_f32_i32_e32 v105, v105                               // 000000005044: 7ED20B69
	v_cvt_f32_i32_e32 v106, v106                               // 000000005048: 7ED40B6A
	v_cvt_f32_i32_e32 v107, v107                               // 00000000504C: 7ED60B6B
	v_mul_f32_e32 v104, v14, v104                              // 000000005050: 0AD0D10E
	v_mul_f32_e32 v105, v14, v105                              // 000000005054: 0AD2D30E
	v_mul_f32_e32 v106, v14, v106                              // 000000005058: 0AD4D50E
	v_mul_f32_e32 v107, v14, v107                              // 00000000505C: 0AD6D70E
	v_mul_f32_dpp v104, v49, v104 row_newbcast:4 row_mask:0xf bank_mask:0xf// 000000005060: 0AD0D0FA FF015431
	v_mul_f32_dpp v105, v49, v105 row_newbcast:5 row_mask:0xf bank_mask:0xf// 000000005068: 0AD2D2FA FF015531
	v_mul_f32_dpp v106, v49, v106 row_newbcast:6 row_mask:0xf bank_mask:0xf// 000000005070: 0AD4D4FA FF015631
	v_mul_f32_dpp v107, v49, v107 row_newbcast:7 row_mask:0xf bank_mask:0xf// 000000005078: 0AD6D6FA FF015731
	v_cvt_f32_i32_e32 v108, v108                               // 000000005080: 7ED80B6C
	v_cvt_f32_i32_e32 v109, v109                               // 000000005084: 7EDA0B6D
	v_cvt_f32_i32_e32 v110, v110                               // 000000005088: 7EDC0B6E
	v_cvt_f32_i32_e32 v111, v111                               // 00000000508C: 7EDE0B6F
	v_mul_f32_e32 v108, v15, v108                              // 000000005090: 0AD8D90F
	v_mul_f32_e32 v109, v15, v109                              // 000000005094: 0ADADB0F
	v_mul_f32_e32 v110, v15, v110                              // 000000005098: 0ADCDD0F
	v_mul_f32_e32 v111, v15, v111                              // 00000000509C: 0ADEDF0F
	v_mul_f32_dpp v108, v49, v108 row_newbcast:4 row_mask:0xf bank_mask:0xf// 0000000050A0: 0AD8D8FA FF015431
	v_mul_f32_dpp v109, v49, v109 row_newbcast:5 row_mask:0xf bank_mask:0xf// 0000000050A8: 0ADADAFA FF015531
	v_mul_f32_dpp v110, v49, v110 row_newbcast:6 row_mask:0xf bank_mask:0xf// 0000000050B0: 0ADCDCFA FF015631
	v_mul_f32_dpp v111, v49, v111 row_newbcast:7 row_mask:0xf bank_mask:0xf// 0000000050B8: 0ADEDEFA FF015731
	s_waitcnt vmcnt(20)                                        // 0000000050C0: BF8C4F74
	buffer_load_dwordx4 a[0:3], v40, s[12:15], 0 offen         // 0000000050C4: E05C1000 80830028
	v_mul_f32_e32 v50, v128, v128                              // 0000000050CC: 0A650180
	v_mul_f32_e32 v51, v129, v129                              // 0000000050D0: 0A670381
	v_mul_f32_e32 v52, v130, v130                              // 0000000050D4: 0A690582
	v_mul_f32_e32 v53, v131, v131                              // 0000000050D8: 0A6B0783
	v_fma_f32 v50, v50, s77, v1                                // 0000000050DC: D1CB0032 04049B32
	v_fma_f32 v51, v51, s77, v1                                // 0000000050E4: D1CB0033 04049B33
	v_fma_f32 v52, v52, s77, v1                                // 0000000050EC: D1CB0034 04049B34
	v_fma_f32 v53, v53, s77, v1                                // 0000000050F4: D1CB0035 04049B35
	v_mul_f32_e32 v50, v50, v128                               // 0000000050FC: 0A650132
	v_mul_f32_e32 v51, v51, v129                               // 000000005100: 0A670333
	v_mul_f32_e32 v52, v52, v130                               // 000000005104: 0A690534
	v_mul_f32_e32 v53, v53, v131                               // 000000005108: 0A6B0735
	v_mul_f32_e64 v50, v50, s6                                 // 00000000510C: D1050032 00000D32
	v_mul_f32_e64 v51, v51, s6                                 // 000000005114: D1050033 00000D33
	v_mul_f32_e64 v52, v52, s6                                 // 00000000511C: D1050034 00000D34
	v_mul_f32_e64 v53, v53, s6                                 // 000000005124: D1050035 00000D35
	v_exp_f32_e32 v50, v50                                     // 00000000512C: 7E644132
	v_exp_f32_e32 v51, v51                                     // 000000005130: 7E664133
	v_exp_f32_e32 v52, v52                                     // 000000005134: 7E684134
	v_exp_f32_e32 v53, v53                                     // 000000005138: 7E6A4135
	buffer_load_dwordx4 a[4:7], v41, s[12:15], 0 offen         // 00000000513C: E05C1000 80830429
	v_add_f32_e64 v50, v50, 1.0                                // 000000005144: D1010032 0001E532
	v_add_f32_e64 v51, v51, 1.0                                // 00000000514C: D1010033 0001E533
	v_add_f32_e64 v52, v52, 1.0                                // 000000005154: D1010034 0001E534
	v_add_f32_e64 v53, v53, 1.0                                // 00000000515C: D1010035 0001E535
	v_rcp_f32_e32 v50, v50                                     // 000000005164: 7E644532
	v_rcp_f32_e32 v51, v51                                     // 000000005168: 7E664533
	v_rcp_f32_e32 v52, v52                                     // 00000000516C: 7E684534
	v_rcp_f32_e32 v53, v53                                     // 000000005170: 7E6A4535
	v_mul_f32_e32 v128, v128, v50                              // 000000005174: 0B006580
	v_mul_f32_e32 v129, v129, v51                              // 000000005178: 0B026781
	v_mul_f32_e32 v130, v130, v52                              // 00000000517C: 0B046982
	v_mul_f32_e32 v131, v131, v53                              // 000000005180: 0B066B83
	v_mul_f32_e32 v128, v128, v64                              // 000000005184: 0B008180
	v_mul_f32_e32 v129, v129, v65                              // 000000005188: 0B028381
	v_mul_f32_e32 v130, v130, v66                              // 00000000518C: 0B048582
	v_mul_f32_e32 v131, v131, v67                              // 000000005190: 0B068783
	buffer_load_dwordx4 a[8:11], v42, s[12:15], 0 offen        // 000000005194: E05C1000 8083082A
	v_mul_f32_e32 v50, v132, v132                              // 00000000519C: 0A650984
	v_mul_f32_e32 v51, v133, v133                              // 0000000051A0: 0A670B85
	v_mul_f32_e32 v52, v134, v134                              // 0000000051A4: 0A690D86
	v_mul_f32_e32 v53, v135, v135                              // 0000000051A8: 0A6B0F87
	v_fma_f32 v50, v50, s77, v1                                // 0000000051AC: D1CB0032 04049B32
	v_fma_f32 v51, v51, s77, v1                                // 0000000051B4: D1CB0033 04049B33
	v_fma_f32 v52, v52, s77, v1                                // 0000000051BC: D1CB0034 04049B34
	v_fma_f32 v53, v53, s77, v1                                // 0000000051C4: D1CB0035 04049B35
	v_mul_f32_e32 v50, v50, v132                               // 0000000051CC: 0A650932
	v_mul_f32_e32 v51, v51, v133                               // 0000000051D0: 0A670B33
	v_mul_f32_e32 v52, v52, v134                               // 0000000051D4: 0A690D34
	v_mul_f32_e32 v53, v53, v135                               // 0000000051D8: 0A6B0F35
	v_mul_f32_e64 v50, v50, s6                                 // 0000000051DC: D1050032 00000D32
	v_mul_f32_e64 v51, v51, s6                                 // 0000000051E4: D1050033 00000D33
	v_mul_f32_e64 v52, v52, s6                                 // 0000000051EC: D1050034 00000D34
	v_mul_f32_e64 v53, v53, s6                                 // 0000000051F4: D1050035 00000D35
	v_exp_f32_e32 v50, v50                                     // 0000000051FC: 7E644132
	v_exp_f32_e32 v51, v51                                     // 000000005200: 7E664133
	v_exp_f32_e32 v52, v52                                     // 000000005204: 7E684134
	v_exp_f32_e32 v53, v53                                     // 000000005208: 7E6A4135
	buffer_load_dwordx4 a[12:15], v43, s[12:15], 0 offen       // 00000000520C: E05C1000 80830C2B
	s_add_u32 s12, s78, s12                                    // 000000005214: 800C0C4E
	s_addc_u32 s13, 0, s13                                     // 000000005218: 820D0D80
	v_add_f32_e64 v50, v50, 1.0                                // 00000000521C: D1010032 0001E532
	v_add_f32_e64 v51, v51, 1.0                                // 000000005224: D1010033 0001E533
	v_add_f32_e64 v52, v52, 1.0                                // 00000000522C: D1010034 0001E534
	v_add_f32_e64 v53, v53, 1.0                                // 000000005234: D1010035 0001E535
	v_rcp_f32_e32 v50, v50                                     // 00000000523C: 7E644532
	v_rcp_f32_e32 v51, v51                                     // 000000005240: 7E664533
	v_rcp_f32_e32 v52, v52                                     // 000000005244: 7E684534
	v_rcp_f32_e32 v53, v53                                     // 000000005248: 7E6A4535
	v_mul_f32_e32 v132, v132, v50                              // 00000000524C: 0B086584
	v_mul_f32_e32 v133, v133, v51                              // 000000005250: 0B0A6785
	v_mul_f32_e32 v134, v134, v52                              // 000000005254: 0B0C6986
	v_mul_f32_e32 v135, v135, v53                              // 000000005258: 0B0E6B87
	v_mul_f32_e32 v132, v132, v68                              // 00000000525C: 0B088984
	v_mul_f32_e32 v133, v133, v69                              // 000000005260: 0B0A8B85
	v_mul_f32_e32 v134, v134, v70                              // 000000005264: 0B0C8D86
	v_mul_f32_e32 v135, v135, v71                              // 000000005268: 0B0E8F87
	s_waitcnt vmcnt(20)                                        // 00000000526C: BF8C4F74
	buffer_load_dwordx4 a[16:19], v40, s[12:15], 0 offen       // 000000005270: E05C1000 80831028
	v_mul_f32_e32 v50, v136, v136                              // 000000005278: 0A651188
	v_mul_f32_e32 v51, v137, v137                              // 00000000527C: 0A671389
	v_mul_f32_e32 v52, v138, v138                              // 000000005280: 0A69158A
	v_mul_f32_e32 v53, v139, v139                              // 000000005284: 0A6B178B
	v_fma_f32 v50, v50, s77, v1                                // 000000005288: D1CB0032 04049B32
	v_fma_f32 v51, v51, s77, v1                                // 000000005290: D1CB0033 04049B33
	v_fma_f32 v52, v52, s77, v1                                // 000000005298: D1CB0034 04049B34
	v_fma_f32 v53, v53, s77, v1                                // 0000000052A0: D1CB0035 04049B35
	v_mul_f32_e32 v50, v50, v136                               // 0000000052A8: 0A651132
	v_mul_f32_e32 v51, v51, v137                               // 0000000052AC: 0A671333
	v_mul_f32_e32 v52, v52, v138                               // 0000000052B0: 0A691534
	v_mul_f32_e32 v53, v53, v139                               // 0000000052B4: 0A6B1735
	v_mul_f32_e64 v50, v50, s6                                 // 0000000052B8: D1050032 00000D32
	v_mul_f32_e64 v51, v51, s6                                 // 0000000052C0: D1050033 00000D33
	v_mul_f32_e64 v52, v52, s6                                 // 0000000052C8: D1050034 00000D34
	v_mul_f32_e64 v53, v53, s6                                 // 0000000052D0: D1050035 00000D35
	v_exp_f32_e32 v50, v50                                     // 0000000052D8: 7E644132
	v_exp_f32_e32 v51, v51                                     // 0000000052DC: 7E664133
	v_exp_f32_e32 v52, v52                                     // 0000000052E0: 7E684134
	v_exp_f32_e32 v53, v53                                     // 0000000052E4: 7E6A4135
	buffer_load_dwordx4 a[20:23], v41, s[12:15], 0 offen       // 0000000052E8: E05C1000 80831429
	v_add_f32_e64 v50, v50, 1.0                                // 0000000052F0: D1010032 0001E532
	v_add_f32_e64 v51, v51, 1.0                                // 0000000052F8: D1010033 0001E533
	v_add_f32_e64 v52, v52, 1.0                                // 000000005300: D1010034 0001E534
	v_add_f32_e64 v53, v53, 1.0                                // 000000005308: D1010035 0001E535
	v_rcp_f32_e32 v50, v50                                     // 000000005310: 7E644532
	v_rcp_f32_e32 v51, v51                                     // 000000005314: 7E664533
	v_rcp_f32_e32 v52, v52                                     // 000000005318: 7E684534
	v_rcp_f32_e32 v53, v53                                     // 00000000531C: 7E6A4535
	v_mul_f32_e32 v136, v136, v50                              // 000000005320: 0B106588
	v_mul_f32_e32 v137, v137, v51                              // 000000005324: 0B126789
	v_mul_f32_e32 v138, v138, v52                              // 000000005328: 0B14698A
	v_mul_f32_e32 v139, v139, v53                              // 00000000532C: 0B166B8B
	v_mul_f32_e32 v136, v136, v72                              // 000000005330: 0B109188
	v_mul_f32_e32 v137, v137, v73                              // 000000005334: 0B129389
	v_mul_f32_e32 v138, v138, v74                              // 000000005338: 0B14958A
	v_mul_f32_e32 v139, v139, v75                              // 00000000533C: 0B16978B
	buffer_load_dwordx4 a[24:27], v42, s[12:15], 0 offen       // 000000005340: E05C1000 8083182A
	v_mul_f32_e32 v50, v140, v140                              // 000000005348: 0A65198C
	v_mul_f32_e32 v51, v141, v141                              // 00000000534C: 0A671B8D
	v_mul_f32_e32 v52, v142, v142                              // 000000005350: 0A691D8E
	v_mul_f32_e32 v53, v143, v143                              // 000000005354: 0A6B1F8F
	v_fma_f32 v50, v50, s77, v1                                // 000000005358: D1CB0032 04049B32
	v_fma_f32 v51, v51, s77, v1                                // 000000005360: D1CB0033 04049B33
	v_fma_f32 v52, v52, s77, v1                                // 000000005368: D1CB0034 04049B34
	v_fma_f32 v53, v53, s77, v1                                // 000000005370: D1CB0035 04049B35
	v_mul_f32_e32 v50, v50, v140                               // 000000005378: 0A651932
	v_mul_f32_e32 v51, v51, v141                               // 00000000537C: 0A671B33
	v_mul_f32_e32 v52, v52, v142                               // 000000005380: 0A691D34
	v_mul_f32_e32 v53, v53, v143                               // 000000005384: 0A6B1F35
	v_mul_f32_e64 v50, v50, s6                                 // 000000005388: D1050032 00000D32
	v_mul_f32_e64 v51, v51, s6                                 // 000000005390: D1050033 00000D33
	v_mul_f32_e64 v52, v52, s6                                 // 000000005398: D1050034 00000D34
	v_mul_f32_e64 v53, v53, s6                                 // 0000000053A0: D1050035 00000D35
	v_exp_f32_e32 v50, v50                                     // 0000000053A8: 7E644132
	v_exp_f32_e32 v51, v51                                     // 0000000053AC: 7E664133
	v_exp_f32_e32 v52, v52                                     // 0000000053B0: 7E684134
	v_exp_f32_e32 v53, v53                                     // 0000000053B4: 7E6A4135
	buffer_load_dwordx4 a[28:31], v43, s[12:15], 0 offen       // 0000000053B8: E05C1000 80831C2B
	s_add_u32 s12, s78, s12                                    // 0000000053C0: 800C0C4E
	s_addc_u32 s13, 0, s13                                     // 0000000053C4: 820D0D80
	v_add_f32_e64 v50, v50, 1.0                                // 0000000053C8: D1010032 0001E532
	v_add_f32_e64 v51, v51, 1.0                                // 0000000053D0: D1010033 0001E533
	v_add_f32_e64 v52, v52, 1.0                                // 0000000053D8: D1010034 0001E534
	v_add_f32_e64 v53, v53, 1.0                                // 0000000053E0: D1010035 0001E535
	v_rcp_f32_e32 v50, v50                                     // 0000000053E8: 7E644532
	v_rcp_f32_e32 v51, v51                                     // 0000000053EC: 7E664533
	v_rcp_f32_e32 v52, v52                                     // 0000000053F0: 7E684534
	v_rcp_f32_e32 v53, v53                                     // 0000000053F4: 7E6A4535
	v_mul_f32_e32 v140, v140, v50                              // 0000000053F8: 0B18658C
	v_mul_f32_e32 v141, v141, v51                              // 0000000053FC: 0B1A678D
	v_mul_f32_e32 v142, v142, v52                              // 000000005400: 0B1C698E
	v_mul_f32_e32 v143, v143, v53                              // 000000005404: 0B1E6B8F
	v_mul_f32_e32 v140, v140, v76                              // 000000005408: 0B18998C
	v_mul_f32_e32 v141, v141, v77                              // 00000000540C: 0B1A9B8D
	v_mul_f32_e32 v142, v142, v78                              // 000000005410: 0B1C9D8E
	v_mul_f32_e32 v143, v143, v79                              // 000000005414: 0B1E9F8F
	s_waitcnt vmcnt(20)                                        // 000000005418: BF8C4F74
	buffer_load_dwordx4 a[32:35], v40, s[12:15], 0 offen       // 00000000541C: E05C1000 80832028
	v_mul_f32_e32 v50, v144, v144                              // 000000005424: 0A652190
	v_mul_f32_e32 v51, v145, v145                              // 000000005428: 0A672391
	v_mul_f32_e32 v52, v146, v146                              // 00000000542C: 0A692592
	v_mul_f32_e32 v53, v147, v147                              // 000000005430: 0A6B2793
	v_fma_f32 v50, v50, s77, v1                                // 000000005434: D1CB0032 04049B32
	v_fma_f32 v51, v51, s77, v1                                // 00000000543C: D1CB0033 04049B33
	v_fma_f32 v52, v52, s77, v1                                // 000000005444: D1CB0034 04049B34
	v_fma_f32 v53, v53, s77, v1                                // 00000000544C: D1CB0035 04049B35
	v_mul_f32_e32 v50, v50, v144                               // 000000005454: 0A652132
	v_mul_f32_e32 v51, v51, v145                               // 000000005458: 0A672333
	v_mul_f32_e32 v52, v52, v146                               // 00000000545C: 0A692534
	v_mul_f32_e32 v53, v53, v147                               // 000000005460: 0A6B2735
	v_mul_f32_e64 v50, v50, s6                                 // 000000005464: D1050032 00000D32
	v_mul_f32_e64 v51, v51, s6                                 // 00000000546C: D1050033 00000D33
	v_mul_f32_e64 v52, v52, s6                                 // 000000005474: D1050034 00000D34
	v_mul_f32_e64 v53, v53, s6                                 // 00000000547C: D1050035 00000D35
	v_exp_f32_e32 v50, v50                                     // 000000005484: 7E644132
	v_exp_f32_e32 v51, v51                                     // 000000005488: 7E664133
	v_exp_f32_e32 v52, v52                                     // 00000000548C: 7E684134
	v_exp_f32_e32 v53, v53                                     // 000000005490: 7E6A4135
	buffer_load_dwordx4 a[36:39], v41, s[12:15], 0 offen       // 000000005494: E05C1000 80832429
	v_add_f32_e64 v50, v50, 1.0                                // 00000000549C: D1010032 0001E532
	v_add_f32_e64 v51, v51, 1.0                                // 0000000054A4: D1010033 0001E533
	v_add_f32_e64 v52, v52, 1.0                                // 0000000054AC: D1010034 0001E534
	v_add_f32_e64 v53, v53, 1.0                                // 0000000054B4: D1010035 0001E535
	v_rcp_f32_e32 v50, v50                                     // 0000000054BC: 7E644532
	v_rcp_f32_e32 v51, v51                                     // 0000000054C0: 7E664533
	v_rcp_f32_e32 v52, v52                                     // 0000000054C4: 7E684534
	v_rcp_f32_e32 v53, v53                                     // 0000000054C8: 7E6A4535
	v_mul_f32_e32 v144, v144, v50                              // 0000000054CC: 0B206590
	v_mul_f32_e32 v145, v145, v51                              // 0000000054D0: 0B226791
	v_mul_f32_e32 v146, v146, v52                              // 0000000054D4: 0B246992
	v_mul_f32_e32 v147, v147, v53                              // 0000000054D8: 0B266B93
	v_mul_f32_e32 v144, v144, v80                              // 0000000054DC: 0B20A190
	v_mul_f32_e32 v145, v145, v81                              // 0000000054E0: 0B22A391
	v_mul_f32_e32 v146, v146, v82                              // 0000000054E4: 0B24A592
	v_mul_f32_e32 v147, v147, v83                              // 0000000054E8: 0B26A793
	buffer_load_dwordx4 a[40:43], v42, s[12:15], 0 offen       // 0000000054EC: E05C1000 8083282A
	v_mul_f32_e32 v50, v148, v148                              // 0000000054F4: 0A652994
	v_mul_f32_e32 v51, v149, v149                              // 0000000054F8: 0A672B95
	v_mul_f32_e32 v52, v150, v150                              // 0000000054FC: 0A692D96
	v_mul_f32_e32 v53, v151, v151                              // 000000005500: 0A6B2F97
	v_fma_f32 v50, v50, s77, v1                                // 000000005504: D1CB0032 04049B32
	v_fma_f32 v51, v51, s77, v1                                // 00000000550C: D1CB0033 04049B33
	v_fma_f32 v52, v52, s77, v1                                // 000000005514: D1CB0034 04049B34
	v_fma_f32 v53, v53, s77, v1                                // 00000000551C: D1CB0035 04049B35
	v_mul_f32_e32 v50, v50, v148                               // 000000005524: 0A652932
	v_mul_f32_e32 v51, v51, v149                               // 000000005528: 0A672B33
	v_mul_f32_e32 v52, v52, v150                               // 00000000552C: 0A692D34
	v_mul_f32_e32 v53, v53, v151                               // 000000005530: 0A6B2F35
	v_mul_f32_e64 v50, v50, s6                                 // 000000005534: D1050032 00000D32
	v_mul_f32_e64 v51, v51, s6                                 // 00000000553C: D1050033 00000D33
	v_mul_f32_e64 v52, v52, s6                                 // 000000005544: D1050034 00000D34
	v_mul_f32_e64 v53, v53, s6                                 // 00000000554C: D1050035 00000D35
	v_exp_f32_e32 v50, v50                                     // 000000005554: 7E644132
	v_exp_f32_e32 v51, v51                                     // 000000005558: 7E664133
	v_exp_f32_e32 v52, v52                                     // 00000000555C: 7E684134
	v_exp_f32_e32 v53, v53                                     // 000000005560: 7E6A4135
	buffer_load_dwordx4 a[44:47], v43, s[12:15], 0 offen       // 000000005564: E05C1000 80832C2B
	s_add_u32 s12, s78, s12                                    // 00000000556C: 800C0C4E
	s_addc_u32 s13, 0, s13                                     // 000000005570: 820D0D80
	v_add_f32_e64 v50, v50, 1.0                                // 000000005574: D1010032 0001E532
	v_add_f32_e64 v51, v51, 1.0                                // 00000000557C: D1010033 0001E533
	v_add_f32_e64 v52, v52, 1.0                                // 000000005584: D1010034 0001E534
	v_add_f32_e64 v53, v53, 1.0                                // 00000000558C: D1010035 0001E535
	v_rcp_f32_e32 v50, v50                                     // 000000005594: 7E644532
	v_rcp_f32_e32 v51, v51                                     // 000000005598: 7E664533
	v_rcp_f32_e32 v52, v52                                     // 00000000559C: 7E684534
	v_rcp_f32_e32 v53, v53                                     // 0000000055A0: 7E6A4535
	v_mul_f32_e32 v148, v148, v50                              // 0000000055A4: 0B286594
	v_mul_f32_e32 v149, v149, v51                              // 0000000055A8: 0B2A6795
	v_mul_f32_e32 v150, v150, v52                              // 0000000055AC: 0B2C6996
	v_mul_f32_e32 v151, v151, v53                              // 0000000055B0: 0B2E6B97
	v_mul_f32_e32 v148, v148, v84                              // 0000000055B4: 0B28A994
	v_mul_f32_e32 v149, v149, v85                              // 0000000055B8: 0B2AAB95
	v_mul_f32_e32 v150, v150, v86                              // 0000000055BC: 0B2CAD96
	v_mul_f32_e32 v151, v151, v87                              // 0000000055C0: 0B2EAF97
	s_waitcnt vmcnt(20)                                        // 0000000055C4: BF8C4F74
	buffer_load_dwordx4 a[48:51], v40, s[12:15], 0 offen       // 0000000055C8: E05C1000 80833028
	v_mul_f32_e32 v50, v152, v152                              // 0000000055D0: 0A653198
	v_mul_f32_e32 v51, v153, v153                              // 0000000055D4: 0A673399
	v_mul_f32_e32 v52, v154, v154                              // 0000000055D8: 0A69359A
	v_mul_f32_e32 v53, v155, v155                              // 0000000055DC: 0A6B379B
	v_fma_f32 v50, v50, s77, v1                                // 0000000055E0: D1CB0032 04049B32
	v_fma_f32 v51, v51, s77, v1                                // 0000000055E8: D1CB0033 04049B33
	v_fma_f32 v52, v52, s77, v1                                // 0000000055F0: D1CB0034 04049B34
	v_fma_f32 v53, v53, s77, v1                                // 0000000055F8: D1CB0035 04049B35
	v_mul_f32_e32 v50, v50, v152                               // 000000005600: 0A653132
	v_mul_f32_e32 v51, v51, v153                               // 000000005604: 0A673333
	v_mul_f32_e32 v52, v52, v154                               // 000000005608: 0A693534
	v_mul_f32_e32 v53, v53, v155                               // 00000000560C: 0A6B3735
	v_mul_f32_e64 v50, v50, s6                                 // 000000005610: D1050032 00000D32
	v_mul_f32_e64 v51, v51, s6                                 // 000000005618: D1050033 00000D33
	v_mul_f32_e64 v52, v52, s6                                 // 000000005620: D1050034 00000D34
	v_mul_f32_e64 v53, v53, s6                                 // 000000005628: D1050035 00000D35
	v_exp_f32_e32 v50, v50                                     // 000000005630: 7E644132
	v_exp_f32_e32 v51, v51                                     // 000000005634: 7E664133
	v_exp_f32_e32 v52, v52                                     // 000000005638: 7E684134
	v_exp_f32_e32 v53, v53                                     // 00000000563C: 7E6A4135
	buffer_load_dwordx4 a[52:55], v41, s[12:15], 0 offen       // 000000005640: E05C1000 80833429
	v_add_f32_e64 v50, v50, 1.0                                // 000000005648: D1010032 0001E532
	v_add_f32_e64 v51, v51, 1.0                                // 000000005650: D1010033 0001E533
	v_add_f32_e64 v52, v52, 1.0                                // 000000005658: D1010034 0001E534
	v_add_f32_e64 v53, v53, 1.0                                // 000000005660: D1010035 0001E535
	v_rcp_f32_e32 v50, v50                                     // 000000005668: 7E644532
	v_rcp_f32_e32 v51, v51                                     // 00000000566C: 7E664533
	v_rcp_f32_e32 v52, v52                                     // 000000005670: 7E684534
	v_rcp_f32_e32 v53, v53                                     // 000000005674: 7E6A4535
	v_mul_f32_e32 v152, v152, v50                              // 000000005678: 0B306598
	v_mul_f32_e32 v153, v153, v51                              // 00000000567C: 0B326799
	v_mul_f32_e32 v154, v154, v52                              // 000000005680: 0B34699A
	v_mul_f32_e32 v155, v155, v53                              // 000000005684: 0B366B9B
	v_mul_f32_e32 v152, v152, v88                              // 000000005688: 0B30B198
	v_mul_f32_e32 v153, v153, v89                              // 00000000568C: 0B32B399
	v_mul_f32_e32 v154, v154, v90                              // 000000005690: 0B34B59A
	v_mul_f32_e32 v155, v155, v91                              // 000000005694: 0B36B79B
	buffer_load_dwordx4 a[56:59], v42, s[12:15], 0 offen       // 000000005698: E05C1000 8083382A
	v_mul_f32_e32 v50, v156, v156                              // 0000000056A0: 0A65399C
	v_mul_f32_e32 v51, v157, v157                              // 0000000056A4: 0A673B9D
	v_mul_f32_e32 v52, v158, v158                              // 0000000056A8: 0A693D9E
	v_mul_f32_e32 v53, v159, v159                              // 0000000056AC: 0A6B3F9F
	v_fma_f32 v50, v50, s77, v1                                // 0000000056B0: D1CB0032 04049B32
	v_fma_f32 v51, v51, s77, v1                                // 0000000056B8: D1CB0033 04049B33
	v_fma_f32 v52, v52, s77, v1                                // 0000000056C0: D1CB0034 04049B34
	v_fma_f32 v53, v53, s77, v1                                // 0000000056C8: D1CB0035 04049B35
	v_mul_f32_e32 v50, v50, v156                               // 0000000056D0: 0A653932
	v_mul_f32_e32 v51, v51, v157                               // 0000000056D4: 0A673B33
	v_mul_f32_e32 v52, v52, v158                               // 0000000056D8: 0A693D34
	v_mul_f32_e32 v53, v53, v159                               // 0000000056DC: 0A6B3F35
	v_mul_f32_e64 v50, v50, s6                                 // 0000000056E0: D1050032 00000D32
	v_mul_f32_e64 v51, v51, s6                                 // 0000000056E8: D1050033 00000D33
	v_mul_f32_e64 v52, v52, s6                                 // 0000000056F0: D1050034 00000D34
	v_mul_f32_e64 v53, v53, s6                                 // 0000000056F8: D1050035 00000D35
	v_exp_f32_e32 v50, v50                                     // 000000005700: 7E644132
	v_exp_f32_e32 v51, v51                                     // 000000005704: 7E664133
	v_exp_f32_e32 v52, v52                                     // 000000005708: 7E684134
	v_exp_f32_e32 v53, v53                                     // 00000000570C: 7E6A4135
	buffer_load_dwordx4 a[60:63], v43, s[12:15], 0 offen       // 000000005710: E05C1000 80833C2B
	s_add_u32 s12, s78, s12                                    // 000000005718: 800C0C4E
	s_addc_u32 s13, 0, s13                                     // 00000000571C: 820D0D80
	v_add_f32_e64 v50, v50, 1.0                                // 000000005720: D1010032 0001E532
	v_add_f32_e64 v51, v51, 1.0                                // 000000005728: D1010033 0001E533
	v_add_f32_e64 v52, v52, 1.0                                // 000000005730: D1010034 0001E534
	v_add_f32_e64 v53, v53, 1.0                                // 000000005738: D1010035 0001E535
	v_rcp_f32_e32 v50, v50                                     // 000000005740: 7E644532
	v_rcp_f32_e32 v51, v51                                     // 000000005744: 7E664533
	v_rcp_f32_e32 v52, v52                                     // 000000005748: 7E684534
	v_rcp_f32_e32 v53, v53                                     // 00000000574C: 7E6A4535
	v_mul_f32_e32 v156, v156, v50                              // 000000005750: 0B38659C
	v_mul_f32_e32 v157, v157, v51                              // 000000005754: 0B3A679D
	v_mul_f32_e32 v158, v158, v52                              // 000000005758: 0B3C699E
	v_mul_f32_e32 v159, v159, v53                              // 00000000575C: 0B3E6B9F
	v_mul_f32_e32 v156, v156, v92                              // 000000005760: 0B38B99C
	v_mul_f32_e32 v157, v157, v93                              // 000000005764: 0B3ABB9D
	v_mul_f32_e32 v158, v158, v94                              // 000000005768: 0B3CBD9E
	v_mul_f32_e32 v159, v159, v95                              // 00000000576C: 0B3EBF9F
	s_waitcnt vmcnt(20)                                        // 000000005770: BF8C4F74
	buffer_load_dwordx4 a[64:67], v40, s[12:15], 0 offen       // 000000005774: E05C1000 80834028
	v_mul_f32_e32 v50, v160, v160                              // 00000000577C: 0A6541A0
	v_mul_f32_e32 v51, v161, v161                              // 000000005780: 0A6743A1
	v_mul_f32_e32 v52, v162, v162                              // 000000005784: 0A6945A2
	v_mul_f32_e32 v53, v163, v163                              // 000000005788: 0A6B47A3
	v_fma_f32 v50, v50, s77, v1                                // 00000000578C: D1CB0032 04049B32
	v_fma_f32 v51, v51, s77, v1                                // 000000005794: D1CB0033 04049B33
	v_fma_f32 v52, v52, s77, v1                                // 00000000579C: D1CB0034 04049B34
	v_fma_f32 v53, v53, s77, v1                                // 0000000057A4: D1CB0035 04049B35
	v_mul_f32_e32 v50, v50, v160                               // 0000000057AC: 0A654132
	v_mul_f32_e32 v51, v51, v161                               // 0000000057B0: 0A674333
	v_mul_f32_e32 v52, v52, v162                               // 0000000057B4: 0A694534
	v_mul_f32_e32 v53, v53, v163                               // 0000000057B8: 0A6B4735
	v_mul_f32_e64 v50, v50, s6                                 // 0000000057BC: D1050032 00000D32
	v_mul_f32_e64 v51, v51, s6                                 // 0000000057C4: D1050033 00000D33
	v_mul_f32_e64 v52, v52, s6                                 // 0000000057CC: D1050034 00000D34
	v_mul_f32_e64 v53, v53, s6                                 // 0000000057D4: D1050035 00000D35
	v_exp_f32_e32 v50, v50                                     // 0000000057DC: 7E644132
	v_exp_f32_e32 v51, v51                                     // 0000000057E0: 7E664133
	v_exp_f32_e32 v52, v52                                     // 0000000057E4: 7E684134
	v_exp_f32_e32 v53, v53                                     // 0000000057E8: 7E6A4135
	buffer_load_dwordx4 a[68:71], v41, s[12:15], 0 offen       // 0000000057EC: E05C1000 80834429
	v_add_f32_e64 v50, v50, 1.0                                // 0000000057F4: D1010032 0001E532
	v_add_f32_e64 v51, v51, 1.0                                // 0000000057FC: D1010033 0001E533
	v_add_f32_e64 v52, v52, 1.0                                // 000000005804: D1010034 0001E534
	v_add_f32_e64 v53, v53, 1.0                                // 00000000580C: D1010035 0001E535
	v_rcp_f32_e32 v50, v50                                     // 000000005814: 7E644532
	v_rcp_f32_e32 v51, v51                                     // 000000005818: 7E664533
	v_rcp_f32_e32 v52, v52                                     // 00000000581C: 7E684534
	v_rcp_f32_e32 v53, v53                                     // 000000005820: 7E6A4535
	v_mul_f32_e32 v160, v160, v50                              // 000000005824: 0B4065A0
	v_mul_f32_e32 v161, v161, v51                              // 000000005828: 0B4267A1
	v_mul_f32_e32 v162, v162, v52                              // 00000000582C: 0B4469A2
	v_mul_f32_e32 v163, v163, v53                              // 000000005830: 0B466BA3
	v_mul_f32_e32 v160, v160, v96                              // 000000005834: 0B40C1A0
	v_mul_f32_e32 v161, v161, v97                              // 000000005838: 0B42C3A1
	v_mul_f32_e32 v162, v162, v98                              // 00000000583C: 0B44C5A2
	v_mul_f32_e32 v163, v163, v99                              // 000000005840: 0B46C7A3
	buffer_load_dwordx4 a[72:75], v42, s[12:15], 0 offen       // 000000005844: E05C1000 8083482A
	v_mul_f32_e32 v50, v164, v164                              // 00000000584C: 0A6549A4
	v_mul_f32_e32 v51, v165, v165                              // 000000005850: 0A674BA5
	v_mul_f32_e32 v52, v166, v166                              // 000000005854: 0A694DA6
	v_mul_f32_e32 v53, v167, v167                              // 000000005858: 0A6B4FA7
	v_fma_f32 v50, v50, s77, v1                                // 00000000585C: D1CB0032 04049B32
	v_fma_f32 v51, v51, s77, v1                                // 000000005864: D1CB0033 04049B33
	v_fma_f32 v52, v52, s77, v1                                // 00000000586C: D1CB0034 04049B34
	v_fma_f32 v53, v53, s77, v1                                // 000000005874: D1CB0035 04049B35
	v_mul_f32_e32 v50, v50, v164                               // 00000000587C: 0A654932
	v_mul_f32_e32 v51, v51, v165                               // 000000005880: 0A674B33
	v_mul_f32_e32 v52, v52, v166                               // 000000005884: 0A694D34
	v_mul_f32_e32 v53, v53, v167                               // 000000005888: 0A6B4F35
	v_mul_f32_e64 v50, v50, s6                                 // 00000000588C: D1050032 00000D32
	v_mul_f32_e64 v51, v51, s6                                 // 000000005894: D1050033 00000D33
	v_mul_f32_e64 v52, v52, s6                                 // 00000000589C: D1050034 00000D34
	v_mul_f32_e64 v53, v53, s6                                 // 0000000058A4: D1050035 00000D35
	v_exp_f32_e32 v50, v50                                     // 0000000058AC: 7E644132
	v_exp_f32_e32 v51, v51                                     // 0000000058B0: 7E664133
	v_exp_f32_e32 v52, v52                                     // 0000000058B4: 7E684134
	v_exp_f32_e32 v53, v53                                     // 0000000058B8: 7E6A4135
	buffer_load_dwordx4 a[76:79], v43, s[12:15], 0 offen       // 0000000058BC: E05C1000 80834C2B
	s_add_u32 s12, s78, s12                                    // 0000000058C4: 800C0C4E
	s_addc_u32 s13, 0, s13                                     // 0000000058C8: 820D0D80
	v_add_f32_e64 v50, v50, 1.0                                // 0000000058CC: D1010032 0001E532
	v_add_f32_e64 v51, v51, 1.0                                // 0000000058D4: D1010033 0001E533
	v_add_f32_e64 v52, v52, 1.0                                // 0000000058DC: D1010034 0001E534
	v_add_f32_e64 v53, v53, 1.0                                // 0000000058E4: D1010035 0001E535
	v_rcp_f32_e32 v50, v50                                     // 0000000058EC: 7E644532
	v_rcp_f32_e32 v51, v51                                     // 0000000058F0: 7E664533
	v_rcp_f32_e32 v52, v52                                     // 0000000058F4: 7E684534
	v_rcp_f32_e32 v53, v53                                     // 0000000058F8: 7E6A4535
	v_mul_f32_e32 v164, v164, v50                              // 0000000058FC: 0B4865A4
	v_mul_f32_e32 v165, v165, v51                              // 000000005900: 0B4A67A5
	v_mul_f32_e32 v166, v166, v52                              // 000000005904: 0B4C69A6
	v_mul_f32_e32 v167, v167, v53                              // 000000005908: 0B4E6BA7
	v_mul_f32_e32 v164, v164, v100                             // 00000000590C: 0B48C9A4
	v_mul_f32_e32 v165, v165, v101                             // 000000005910: 0B4ACBA5
	v_mul_f32_e32 v166, v166, v102                             // 000000005914: 0B4CCDA6
	v_mul_f32_e32 v167, v167, v103                             // 000000005918: 0B4ECFA7
	s_waitcnt vmcnt(20)                                        // 00000000591C: BF8C4F74
	buffer_load_dwordx4 a[80:83], v40, s[12:15], 0 offen       // 000000005920: E05C1000 80835028
	v_mul_f32_e32 v50, v168, v168                              // 000000005928: 0A6551A8
	v_mul_f32_e32 v51, v169, v169                              // 00000000592C: 0A6753A9
	v_mul_f32_e32 v52, v170, v170                              // 000000005930: 0A6955AA
	v_mul_f32_e32 v53, v171, v171                              // 000000005934: 0A6B57AB
	v_fma_f32 v50, v50, s77, v1                                // 000000005938: D1CB0032 04049B32
	v_fma_f32 v51, v51, s77, v1                                // 000000005940: D1CB0033 04049B33
	v_fma_f32 v52, v52, s77, v1                                // 000000005948: D1CB0034 04049B34
	v_fma_f32 v53, v53, s77, v1                                // 000000005950: D1CB0035 04049B35
	v_mul_f32_e32 v50, v50, v168                               // 000000005958: 0A655132
	v_mul_f32_e32 v51, v51, v169                               // 00000000595C: 0A675333
	v_mul_f32_e32 v52, v52, v170                               // 000000005960: 0A695534
	v_mul_f32_e32 v53, v53, v171                               // 000000005964: 0A6B5735
	v_mul_f32_e64 v50, v50, s6                                 // 000000005968: D1050032 00000D32
	v_mul_f32_e64 v51, v51, s6                                 // 000000005970: D1050033 00000D33
	v_mul_f32_e64 v52, v52, s6                                 // 000000005978: D1050034 00000D34
	v_mul_f32_e64 v53, v53, s6                                 // 000000005980: D1050035 00000D35
	v_exp_f32_e32 v50, v50                                     // 000000005988: 7E644132
	v_exp_f32_e32 v51, v51                                     // 00000000598C: 7E664133
	v_exp_f32_e32 v52, v52                                     // 000000005990: 7E684134
	v_exp_f32_e32 v53, v53                                     // 000000005994: 7E6A4135
	buffer_load_dwordx4 a[84:87], v41, s[12:15], 0 offen       // 000000005998: E05C1000 80835429
	v_add_f32_e64 v50, v50, 1.0                                // 0000000059A0: D1010032 0001E532
	v_add_f32_e64 v51, v51, 1.0                                // 0000000059A8: D1010033 0001E533
	v_add_f32_e64 v52, v52, 1.0                                // 0000000059B0: D1010034 0001E534
	v_add_f32_e64 v53, v53, 1.0                                // 0000000059B8: D1010035 0001E535
	v_rcp_f32_e32 v50, v50                                     // 0000000059C0: 7E644532
	v_rcp_f32_e32 v51, v51                                     // 0000000059C4: 7E664533
	v_rcp_f32_e32 v52, v52                                     // 0000000059C8: 7E684534
	v_rcp_f32_e32 v53, v53                                     // 0000000059CC: 7E6A4535
	v_mul_f32_e32 v168, v168, v50                              // 0000000059D0: 0B5065A8
	v_mul_f32_e32 v169, v169, v51                              // 0000000059D4: 0B5267A9
	v_mul_f32_e32 v170, v170, v52                              // 0000000059D8: 0B5469AA
	v_mul_f32_e32 v171, v171, v53                              // 0000000059DC: 0B566BAB
	v_mul_f32_e32 v168, v168, v104                             // 0000000059E0: 0B50D1A8
	v_mul_f32_e32 v169, v169, v105                             // 0000000059E4: 0B52D3A9
	v_mul_f32_e32 v170, v170, v106                             // 0000000059E8: 0B54D5AA
	v_mul_f32_e32 v171, v171, v107                             // 0000000059EC: 0B56D7AB
	buffer_load_dwordx4 a[88:91], v42, s[12:15], 0 offen       // 0000000059F0: E05C1000 8083582A
	v_mul_f32_e32 v50, v172, v172                              // 0000000059F8: 0A6559AC
	v_mul_f32_e32 v51, v173, v173                              // 0000000059FC: 0A675BAD
	v_mul_f32_e32 v52, v174, v174                              // 000000005A00: 0A695DAE
	v_mul_f32_e32 v53, v175, v175                              // 000000005A04: 0A6B5FAF
	v_fma_f32 v50, v50, s77, v1                                // 000000005A08: D1CB0032 04049B32
	v_fma_f32 v51, v51, s77, v1                                // 000000005A10: D1CB0033 04049B33
	v_fma_f32 v52, v52, s77, v1                                // 000000005A18: D1CB0034 04049B34
	v_fma_f32 v53, v53, s77, v1                                // 000000005A20: D1CB0035 04049B35
	v_mul_f32_e32 v50, v50, v172                               // 000000005A28: 0A655932
	v_mul_f32_e32 v51, v51, v173                               // 000000005A2C: 0A675B33
	v_mul_f32_e32 v52, v52, v174                               // 000000005A30: 0A695D34
	v_mul_f32_e32 v53, v53, v175                               // 000000005A34: 0A6B5F35
	v_mul_f32_e64 v50, v50, s6                                 // 000000005A38: D1050032 00000D32
	v_mul_f32_e64 v51, v51, s6                                 // 000000005A40: D1050033 00000D33
	v_mul_f32_e64 v52, v52, s6                                 // 000000005A48: D1050034 00000D34
	v_mul_f32_e64 v53, v53, s6                                 // 000000005A50: D1050035 00000D35
	v_exp_f32_e32 v50, v50                                     // 000000005A58: 7E644132
	v_exp_f32_e32 v51, v51                                     // 000000005A5C: 7E664133
	v_exp_f32_e32 v52, v52                                     // 000000005A60: 7E684134
	v_exp_f32_e32 v53, v53                                     // 000000005A64: 7E6A4135
	buffer_load_dwordx4 a[92:95], v43, s[12:15], 0 offen       // 000000005A68: E05C1000 80835C2B
	v_add_f32_e64 v50, v50, 1.0                                // 000000005A70: D1010032 0001E532
	v_add_f32_e64 v51, v51, 1.0                                // 000000005A78: D1010033 0001E533
	v_add_f32_e64 v52, v52, 1.0                                // 000000005A80: D1010034 0001E534
	v_add_f32_e64 v53, v53, 1.0                                // 000000005A88: D1010035 0001E535
	v_rcp_f32_e32 v50, v50                                     // 000000005A90: 7E644532
	v_rcp_f32_e32 v51, v51                                     // 000000005A94: 7E664533
	v_rcp_f32_e32 v52, v52                                     // 000000005A98: 7E684534
	v_rcp_f32_e32 v53, v53                                     // 000000005A9C: 7E6A4535
	v_mul_f32_e32 v172, v172, v50                              // 000000005AA0: 0B5865AC
	v_mul_f32_e32 v173, v173, v51                              // 000000005AA4: 0B5A67AD
	v_mul_f32_e32 v174, v174, v52                              // 000000005AA8: 0B5C69AE
	v_mul_f32_e32 v175, v175, v53                              // 000000005AAC: 0B5E6BAF
	v_mul_f32_e32 v172, v172, v108                             // 000000005AB0: 0B58D9AC
	v_mul_f32_e32 v173, v173, v109                             // 000000005AB4: 0B5ADBAD
	v_mul_f32_e32 v174, v174, v110                             // 000000005AB8: 0B5CDDAE
	v_mul_f32_e32 v175, v175, v111                             // 000000005ABC: 0B5EDFAF
	v_lshlrev_b32_e32 v50, 2, v0                               // 000000005AC0: 24640082
	s_mul_i32 s60, s82, s71                                    // 000000005AC4: 923C4752
	v_add_u32_e64 v80, v50, s60                                // 000000005AC8: D1340050 00007932
	v_mov_b32_e32 v81, 0                                       // 000000005AD0: 7EA20280
	s_mul_i32 s60, s83, s71                                    // 000000005AD4: 923C4753
	v_add_u32_e64 v82, v50, s60                                // 000000005AD8: D1340052 00007932
	v_mov_b32_e32 v83, 0                                       // 000000005AE0: 7EA60280
	s_mul_i32 s60, s84, s71                                    // 000000005AE4: 923C4754
	v_add_u32_e64 v84, v50, s60                                // 000000005AE8: D1340054 00007932
	v_mov_b32_e32 v85, 0                                       // 000000005AF0: 7EAA0280
	s_mul_i32 s60, s85, s71                                    // 000000005AF4: 923C4755
	v_add_u32_e64 v86, v50, s60                                // 000000005AF8: D1340056 00007932
	v_mov_b32_e32 v87, 0                                       // 000000005B00: 7EAE0280
	s_mul_i32 s60, s86, s71                                    // 000000005B04: 923C4756
	v_add_u32_e64 v88, v50, s60                                // 000000005B08: D1340058 00007932
	v_mov_b32_e32 v89, 0                                       // 000000005B10: 7EB20280
	s_mul_i32 s60, s87, s71                                    // 000000005B14: 923C4757
	v_add_u32_e64 v90, v50, s60                                // 000000005B18: D134005A 00007932
	v_mov_b32_e32 v91, 0                                       // 000000005B20: 7EB60280
	s_mul_i32 s60, s88, s71                                    // 000000005B24: 923C4758
	v_add_u32_e64 v92, v50, s60                                // 000000005B28: D134005C 00007932
	v_mov_b32_e32 v93, 0                                       // 000000005B30: 7EBA0280
	s_mul_i32 s60, s89, s71                                    // 000000005B34: 923C4759
	v_add_u32_e64 v94, v50, s60                                // 000000005B38: D134005E 00007932
	v_mov_b32_e32 v95, 0                                       // 000000005B40: 7EBE0280
	buffer_load_dword v12, v5, s[16:19], 0 offen               // 000000005B44: E0501000 80040C05
	v_mov_b32_e32 v22, 0x358637bd                              // 000000005B4C: 7E2C02FF 358637BD
	v_mov_b32_e32 v23, 0x358637bd                              // 000000005B54: 7E2E02FF 358637BD
	v_max3_f32 v22, |v128|, |v129|, v22                        // 000000005B5C: D1D30316 045B0380
	v_max3_f32 v22, |v130|, |v131|, v22                        // 000000005B64: D1D30316 045B0782
	v_max3_f32 v23, |v132|, |v133|, v23                        // 000000005B6C: D1D30317 045F0B84
	v_max3_f32 v23, |v134|, |v135|, v23                        // 000000005B74: D1D30317 045F0F86
	v_max3_f32 v22, |v136|, |v137|, v22                        // 000000005B7C: D1D30316 045B1388
	v_max3_f32 v22, |v138|, |v139|, v22                        // 000000005B84: D1D30316 045B178A
	v_max3_f32 v23, |v140|, |v141|, v23                        // 000000005B8C: D1D30317 045F1B8C
	v_max3_f32 v23, |v142|, |v143|, v23                        // 000000005B94: D1D30317 045F1F8E
	v_max3_f32 v22, |v144|, |v145|, v22                        // 000000005B9C: D1D30316 045B2390
	v_max3_f32 v22, |v146|, |v147|, v22                        // 000000005BA4: D1D30316 045B2792
	v_max3_f32 v23, |v148|, |v149|, v23                        // 000000005BAC: D1D30317 045F2B94
	v_max3_f32 v23, |v150|, |v151|, v23                        // 000000005BB4: D1D30317 045F2F96
	v_max3_f32 v22, |v152|, |v153|, v22                        // 000000005BBC: D1D30316 045B3398
	v_max3_f32 v22, |v154|, |v155|, v22                        // 000000005BC4: D1D30316 045B379A
	v_max3_f32 v23, |v156|, |v157|, v23                        // 000000005BCC: D1D30317 045F3B9C
	v_max3_f32 v23, |v158|, |v159|, v23                        // 000000005BD4: D1D30317 045F3F9E
	v_max3_f32 v22, |v160|, |v161|, v22                        // 000000005BDC: D1D30316 045B43A0
	v_max3_f32 v22, |v162|, |v163|, v22                        // 000000005BE4: D1D30316 045B47A2
	v_max3_f32 v23, |v164|, |v165|, v23                        // 000000005BEC: D1D30317 045F4BA4
	v_max3_f32 v23, |v166|, |v167|, v23                        // 000000005BF4: D1D30317 045F4FA6
	v_max3_f32 v22, |v168|, |v169|, v22                        // 000000005BFC: D1D30316 045B53A8
	v_max3_f32 v22, |v170|, |v171|, v22                        // 000000005C04: D1D30316 045B57AA
	v_max3_f32 v23, |v172|, |v173|, v23                        // 000000005C0C: D1D30317 045F5BAC
	v_max3_f32 v23, |v174|, |v175|, v23                        // 000000005C14: D1D30317 045F5FAE
	v_lshlrev_b32_e32 v50, 3, v0                               // 000000005C1C: 24640083
	s_mul_i32 s60, 0x200, s7                                   // 000000005C20: 923C07FF 00000200
	v_add_u32_e32 v50, s60, v50                                // 000000005C28: 6864643C
	ds_write_b64 v50, v[22:23] offset:16640                    // 000000005C2C: D89A4100 00001632
	s_waitcnt lgkmcnt(0)                                       // 000000005C34: BF8CC07F
	s_barrier                                                  // 000000005C38: BF8A0000
	v_and_b32_e32 v50, 15, v0                                  // 000000005C3C: 2664008F
	v_lshlrev_b32_e32 v50, 3, v50                              // 000000005C40: 24646483
	ds_read_b64 v[96:97], v50 offset:16640                     // 000000005C44: D8EC4100 60000032
	ds_read_b64 v[98:99], v50 offset:16768                     // 000000005C4C: D8EC4180 62000032
	ds_read_b64 v[100:101], v50 offset:16896                   // 000000005C54: D8EC4200 64000032
	ds_read_b64 v[102:103], v50 offset:17024                   // 000000005C5C: D8EC4280 66000032
	ds_read_b64 v[104:105], v50 offset:17152                   // 000000005C64: D8EC4300 68000032
	ds_read_b64 v[106:107], v50 offset:17280                   // 000000005C6C: D8EC4380 6A000032
	ds_read_b64 v[108:109], v50 offset:17408                   // 000000005C74: D8EC4400 6C000032
	ds_read_b64 v[110:111], v50 offset:17536                   // 000000005C7C: D8EC4480 6E000032
	ds_read_b64 v[112:113], v50 offset:17664                   // 000000005C84: D8EC4500 70000032
	ds_read_b64 v[114:115], v50 offset:17792                   // 000000005C8C: D8EC4580 72000032
	ds_read_b64 v[116:117], v50 offset:17920                   // 000000005C94: D8EC4600 74000032
	ds_read_b64 v[118:119], v50 offset:18048                   // 000000005C9C: D8EC4680 76000032
	ds_read_b64 v[120:121], v50 offset:18176                   // 000000005CA4: D8EC4700 78000032
	ds_read_b64 v[122:123], v50 offset:18304                   // 000000005CAC: D8EC4780 7A000032
	ds_read_b64 v[124:125], v50 offset:18432                   // 000000005CB4: D8EC4800 7C000032
	ds_read_b64 v[126:127], v50 offset:18560                   // 000000005CBC: D8EC4880 7E000032
	s_waitcnt lgkmcnt(0)                                       // 000000005CC4: BF8CC07F
	v_max3_f32 v22, |v96|, |v98|, v22                          // 000000005CC8: D1D30316 045AC560
	v_max3_f32 v23, |v97|, |v99|, v23                          // 000000005CD0: D1D30317 045EC761
	v_max3_f32 v22, |v100|, |v102|, v22                        // 000000005CD8: D1D30316 045ACD64
	v_max3_f32 v23, |v101|, |v103|, v23                        // 000000005CE0: D1D30317 045ECF65
	v_max3_f32 v22, |v104|, |v106|, v22                        // 000000005CE8: D1D30316 045AD568
	v_max3_f32 v23, |v105|, |v107|, v23                        // 000000005CF0: D1D30317 045ED769
	v_max3_f32 v22, |v108|, |v110|, v22                        // 000000005CF8: D1D30316 045ADD6C
	v_max3_f32 v23, |v109|, |v111|, v23                        // 000000005D00: D1D30317 045EDF6D
	v_max3_f32 v22, |v112|, |v114|, v22                        // 000000005D08: D1D30316 045AE570
	v_max3_f32 v23, |v113|, |v115|, v23                        // 000000005D10: D1D30317 045EE771
	v_max3_f32 v22, |v116|, |v118|, v22                        // 000000005D18: D1D30316 045AED74
	v_max3_f32 v23, |v117|, |v119|, v23                        // 000000005D20: D1D30317 045EEF75
	v_max3_f32 v22, |v120|, |v122|, v22                        // 000000005D28: D1D30316 045AF578
	v_max3_f32 v23, |v121|, |v123|, v23                        // 000000005D30: D1D30317 045EF779
	v_max3_f32 v22, |v124|, |v126|, v22                        // 000000005D38: D1D30316 045AFD7C
	v_max3_f32 v23, |v125|, |v127|, v23                        // 000000005D40: D1D30317 045EFF7D
	v_rcp_f32_e32 v22, v22                                     // 000000005D48: 7E2C4516
	v_rcp_f32_e32 v23, v23                                     // 000000005D4C: 7E2E4517
	v_mul_f32_e32 v22, 0x42fe0000, v22                         // 000000005D50: 0A2C2CFF 42FE0000
	v_mul_f32_e32 v23, 0x42fe0000, v23                         // 000000005D58: 0A2E2EFF 42FE0000
	v_mul_f32_e32 v128, v22, v128                              // 000000005D60: 0B010116
	v_mul_f32_e32 v129, v22, v129                              // 000000005D64: 0B030316
	v_mul_f32_e32 v130, v22, v130                              // 000000005D68: 0B050516
	v_mul_f32_e32 v131, v22, v131                              // 000000005D6C: 0B070716
	v_cvt_i32_f32_e32 v128, v128                               // 000000005D70: 7F001180
	v_cvt_i32_f32_e32 v129, v129                               // 000000005D74: 7F021181
	v_cvt_i32_f32_e32 v130, v130                               // 000000005D78: 7F041182
	v_cvt_i32_f32_e32 v131, v131                               // 000000005D7C: 7F061183
	v_perm_b32 v128, v129, v128, s53                           // 000000005D80: D1ED0080 00D70181
	v_perm_b32 v128, v130, v128, s54                           // 000000005D88: D1ED0080 00DB0182
	v_perm_b32 v128, v131, v128, s55                           // 000000005D90: D1ED0080 00DF0183
	v_mul_f32_e32 v132, v23, v132                              // 000000005D98: 0B090917
	v_mul_f32_e32 v133, v23, v133                              // 000000005D9C: 0B0B0B17
	v_mul_f32_e32 v134, v23, v134                              // 000000005DA0: 0B0D0D17
	v_mul_f32_e32 v135, v23, v135                              // 000000005DA4: 0B0F0F17
	v_cvt_i32_f32_e32 v132, v132                               // 000000005DA8: 7F081184
	v_cvt_i32_f32_e32 v133, v133                               // 000000005DAC: 7F0A1185
	v_cvt_i32_f32_e32 v134, v134                               // 000000005DB0: 7F0C1186
	v_cvt_i32_f32_e32 v135, v135                               // 000000005DB4: 7F0E1187
	v_perm_b32 v129, v133, v132, s53                           // 000000005DB8: D1ED0081 00D70985
	v_perm_b32 v129, v134, v129, s54                           // 000000005DC0: D1ED0081 00DB0386
	v_perm_b32 v129, v135, v129, s55                           // 000000005DC8: D1ED0081 00DF0387
	v_mul_f32_e32 v136, v22, v136                              // 000000005DD0: 0B111116
	v_mul_f32_e32 v137, v22, v137                              // 000000005DD4: 0B131316
	v_mul_f32_e32 v138, v22, v138                              // 000000005DD8: 0B151516
	v_mul_f32_e32 v139, v22, v139                              // 000000005DDC: 0B171716
	v_cvt_i32_f32_e32 v136, v136                               // 000000005DE0: 7F101188
	v_cvt_i32_f32_e32 v137, v137                               // 000000005DE4: 7F121189
	v_cvt_i32_f32_e32 v138, v138                               // 000000005DE8: 7F14118A
	v_cvt_i32_f32_e32 v139, v139                               // 000000005DEC: 7F16118B
	v_perm_b32 v130, v137, v136, s53                           // 000000005DF0: D1ED0082 00D71189
	v_perm_b32 v130, v138, v130, s54                           // 000000005DF8: D1ED0082 00DB058A
	v_perm_b32 v130, v139, v130, s55                           // 000000005E00: D1ED0082 00DF058B
	v_mul_f32_e32 v140, v23, v140                              // 000000005E08: 0B191917
	v_mul_f32_e32 v141, v23, v141                              // 000000005E0C: 0B1B1B17
	v_mul_f32_e32 v142, v23, v142                              // 000000005E10: 0B1D1D17
	v_mul_f32_e32 v143, v23, v143                              // 000000005E14: 0B1F1F17
	v_cvt_i32_f32_e32 v140, v140                               // 000000005E18: 7F18118C
	v_cvt_i32_f32_e32 v141, v141                               // 000000005E1C: 7F1A118D
	v_cvt_i32_f32_e32 v142, v142                               // 000000005E20: 7F1C118E
	v_cvt_i32_f32_e32 v143, v143                               // 000000005E24: 7F1E118F
	v_perm_b32 v131, v141, v140, s53                           // 000000005E28: D1ED0083 00D7198D
	v_perm_b32 v131, v142, v131, s54                           // 000000005E30: D1ED0083 00DB078E
	v_perm_b32 v131, v143, v131, s55                           // 000000005E38: D1ED0083 00DF078F
	v_mul_f32_e32 v144, v22, v144                              // 000000005E40: 0B212116
	v_mul_f32_e32 v145, v22, v145                              // 000000005E44: 0B232316
	v_mul_f32_e32 v146, v22, v146                              // 000000005E48: 0B252516
	v_mul_f32_e32 v147, v22, v147                              // 000000005E4C: 0B272716
	v_cvt_i32_f32_e32 v144, v144                               // 000000005E50: 7F201190
	v_cvt_i32_f32_e32 v145, v145                               // 000000005E54: 7F221191
	v_cvt_i32_f32_e32 v146, v146                               // 000000005E58: 7F241192
	v_cvt_i32_f32_e32 v147, v147                               // 000000005E5C: 7F261193
	v_perm_b32 v132, v145, v144, s53                           // 000000005E60: D1ED0084 00D72191
	v_perm_b32 v132, v146, v132, s54                           // 000000005E68: D1ED0084 00DB0992
	v_perm_b32 v132, v147, v132, s55                           // 000000005E70: D1ED0084 00DF0993
	v_mul_f32_e32 v148, v23, v148                              // 000000005E78: 0B292917
	v_mul_f32_e32 v149, v23, v149                              // 000000005E7C: 0B2B2B17
	v_mul_f32_e32 v150, v23, v150                              // 000000005E80: 0B2D2D17
	v_mul_f32_e32 v151, v23, v151                              // 000000005E84: 0B2F2F17
	v_cvt_i32_f32_e32 v148, v148                               // 000000005E88: 7F281194
	v_cvt_i32_f32_e32 v149, v149                               // 000000005E8C: 7F2A1195
	v_cvt_i32_f32_e32 v150, v150                               // 000000005E90: 7F2C1196
	v_cvt_i32_f32_e32 v151, v151                               // 000000005E94: 7F2E1197
	v_perm_b32 v133, v149, v148, s53                           // 000000005E98: D1ED0085 00D72995
	v_perm_b32 v133, v150, v133, s54                           // 000000005EA0: D1ED0085 00DB0B96
	v_perm_b32 v133, v151, v133, s55                           // 000000005EA8: D1ED0085 00DF0B97
	v_mul_f32_e32 v152, v22, v152                              // 000000005EB0: 0B313116
	v_mul_f32_e32 v153, v22, v153                              // 000000005EB4: 0B333316
	v_mul_f32_e32 v154, v22, v154                              // 000000005EB8: 0B353516
	v_mul_f32_e32 v155, v22, v155                              // 000000005EBC: 0B373716
	v_cvt_i32_f32_e32 v152, v152                               // 000000005EC0: 7F301198
	v_cvt_i32_f32_e32 v153, v153                               // 000000005EC4: 7F321199
	v_cvt_i32_f32_e32 v154, v154                               // 000000005EC8: 7F34119A
	v_cvt_i32_f32_e32 v155, v155                               // 000000005ECC: 7F36119B
	v_perm_b32 v134, v153, v152, s53                           // 000000005ED0: D1ED0086 00D73199
	v_perm_b32 v134, v154, v134, s54                           // 000000005ED8: D1ED0086 00DB0D9A
	v_perm_b32 v134, v155, v134, s55                           // 000000005EE0: D1ED0086 00DF0D9B
	v_mul_f32_e32 v156, v23, v156                              // 000000005EE8: 0B393917
	v_mul_f32_e32 v157, v23, v157                              // 000000005EEC: 0B3B3B17
	v_mul_f32_e32 v158, v23, v158                              // 000000005EF0: 0B3D3D17
	v_mul_f32_e32 v159, v23, v159                              // 000000005EF4: 0B3F3F17
	v_cvt_i32_f32_e32 v156, v156                               // 000000005EF8: 7F38119C
	v_cvt_i32_f32_e32 v157, v157                               // 000000005EFC: 7F3A119D
	v_cvt_i32_f32_e32 v158, v158                               // 000000005F00: 7F3C119E
	v_cvt_i32_f32_e32 v159, v159                               // 000000005F04: 7F3E119F
	v_perm_b32 v135, v157, v156, s53                           // 000000005F08: D1ED0087 00D7399D
	v_perm_b32 v135, v158, v135, s54                           // 000000005F10: D1ED0087 00DB0F9E
	v_perm_b32 v135, v159, v135, s55                           // 000000005F18: D1ED0087 00DF0F9F
	v_mul_f32_e32 v160, v22, v160                              // 000000005F20: 0B414116
	v_mul_f32_e32 v161, v22, v161                              // 000000005F24: 0B434316
	v_mul_f32_e32 v162, v22, v162                              // 000000005F28: 0B454516
	v_mul_f32_e32 v163, v22, v163                              // 000000005F2C: 0B474716
	v_cvt_i32_f32_e32 v160, v160                               // 000000005F30: 7F4011A0
	v_cvt_i32_f32_e32 v161, v161                               // 000000005F34: 7F4211A1
	v_cvt_i32_f32_e32 v162, v162                               // 000000005F38: 7F4411A2
	v_cvt_i32_f32_e32 v163, v163                               // 000000005F3C: 7F4611A3
	v_perm_b32 v136, v161, v160, s53                           // 000000005F40: D1ED0088 00D741A1
	v_perm_b32 v136, v162, v136, s54                           // 000000005F48: D1ED0088 00DB11A2
	v_perm_b32 v136, v163, v136, s55                           // 000000005F50: D1ED0088 00DF11A3
	v_mul_f32_e32 v164, v23, v164                              // 000000005F58: 0B494917
	v_mul_f32_e32 v165, v23, v165                              // 000000005F5C: 0B4B4B17
	v_mul_f32_e32 v166, v23, v166                              // 000000005F60: 0B4D4D17
	v_mul_f32_e32 v167, v23, v167                              // 000000005F64: 0B4F4F17
	v_cvt_i32_f32_e32 v164, v164                               // 000000005F68: 7F4811A4
	v_cvt_i32_f32_e32 v165, v165                               // 000000005F6C: 7F4A11A5
	v_cvt_i32_f32_e32 v166, v166                               // 000000005F70: 7F4C11A6
	v_cvt_i32_f32_e32 v167, v167                               // 000000005F74: 7F4E11A7
	v_perm_b32 v137, v165, v164, s53                           // 000000005F78: D1ED0089 00D749A5
	v_perm_b32 v137, v166, v137, s54                           // 000000005F80: D1ED0089 00DB13A6
	v_perm_b32 v137, v167, v137, s55                           // 000000005F88: D1ED0089 00DF13A7
	v_mul_f32_e32 v168, v22, v168                              // 000000005F90: 0B515116
	v_mul_f32_e32 v169, v22, v169                              // 000000005F94: 0B535316
	v_mul_f32_e32 v170, v22, v170                              // 000000005F98: 0B555516
	v_mul_f32_e32 v171, v22, v171                              // 000000005F9C: 0B575716
	v_cvt_i32_f32_e32 v168, v168                               // 000000005FA0: 7F5011A8
	v_cvt_i32_f32_e32 v169, v169                               // 000000005FA4: 7F5211A9
	v_cvt_i32_f32_e32 v170, v170                               // 000000005FA8: 7F5411AA
	v_cvt_i32_f32_e32 v171, v171                               // 000000005FAC: 7F5611AB
	v_perm_b32 v138, v169, v168, s53                           // 000000005FB0: D1ED008A 00D751A9
	v_perm_b32 v138, v170, v138, s54                           // 000000005FB8: D1ED008A 00DB15AA
	v_perm_b32 v138, v171, v138, s55                           // 000000005FC0: D1ED008A 00DF15AB
	v_mul_f32_e32 v172, v23, v172                              // 000000005FC8: 0B595917
	v_mul_f32_e32 v173, v23, v173                              // 000000005FCC: 0B5B5B17
	v_mul_f32_e32 v174, v23, v174                              // 000000005FD0: 0B5D5D17
	v_mul_f32_e32 v175, v23, v175                              // 000000005FD4: 0B5F5F17
	v_cvt_i32_f32_e32 v172, v172                               // 000000005FD8: 7F5811AC
	v_cvt_i32_f32_e32 v173, v173                               // 000000005FDC: 7F5A11AD
	v_cvt_i32_f32_e32 v174, v174                               // 000000005FE0: 7F5C11AE
	v_cvt_i32_f32_e32 v175, v175                               // 000000005FE4: 7F5E11AF
	v_perm_b32 v139, v173, v172, s53                           // 000000005FE8: D1ED008B 00D759AD
	v_perm_b32 v139, v174, v139, s54                           // 000000005FF0: D1ED008B 00DB17AE
	v_perm_b32 v139, v175, v139, s55                           // 000000005FF8: D1ED008B 00DF17AF
	v_rcp_f32_e32 v24, v22                                     // 000000006000: 7E304516
	v_rcp_f32_e32 v25, v23                                     // 000000006004: 7E324517
	v_lshrrev_b32_e32 v50, 5, v0                               // 000000006008: 20640085
	v_lshlrev_b32_e32 v51, 5, v50                              // 00000000600C: 24666485
	v_and_b32_e32 v50, 31, v0                                  // 000000006010: 2664009F
	v_lshrrev_b32_e32 v52, 4, v50                              // 000000006014: 20686484
	v_add_u32_e32 v51, v52, v51                                // 000000006018: 68666734
	v_and_b32_e32 v50, 15, v0                                  // 00000000601C: 2664008F
	v_lshlrev_b32_e32 v50, 1, v50                              // 000000006020: 24646481
	v_add_u32_e32 v51, v50, v51                                // 000000006024: 68666732
	v_lshlrev_b32_e32 v50, 2, v51                              // 000000006028: 24646682
	s_mul_i32 s60, 0x100, s7                                   // 00000000602C: 923C07FF 00000100
	v_add_u32_e64 v50, v50, s60                                // 000000006034: D1340032 00007932
	ds_write_b32 v50, v128 offset:18688                        // 00000000603C: D81A4900 00008032
	ds_write_b32 v50, v129 offset:24832                        // 000000006044: D81A6100 00008132
	ds_write_b32 v50, v130 offset:19712                        // 00000000604C: D81A4D00 00008232
	ds_write_b32 v50, v131 offset:25856                        // 000000006054: D81A6500 00008332
	ds_write_b32 v50, v132 offset:20736                        // 00000000605C: D81A5100 00008432
	ds_write_b32 v50, v133 offset:26880                        // 000000006064: D81A6900 00008532
	ds_write_b32 v50, v134 offset:21760                        // 00000000606C: D81A5500 00008632
	ds_write_b32 v50, v135 offset:27904                        // 000000006074: D81A6D00 00008732
	ds_write_b32 v50, v136 offset:22784                        // 00000000607C: D81A5900 00008832
	ds_write_b32 v50, v137 offset:28928                        // 000000006084: D81A7100 00008932
	ds_write_b32 v50, v138 offset:23808                        // 00000000608C: D81A5D00 00008A32
	ds_write_b32 v50, v139 offset:29952                        // 000000006094: D81A7500 00008B32
	s_waitcnt lgkmcnt(0)                                       // 00000000609C: BF8CC07F
	s_barrier                                                  // 0000000060A0: BF8A0000
	v_lshrrev_b32_e32 v50, 4, v0                               // 0000000060A4: 20640084
	v_lshlrev_b32_e32 v51, 6, v50                              // 0000000060A8: 24666486
	v_and_b32_e32 v50, 15, v0                                  // 0000000060AC: 2664008F
	v_lshlrev_b32_e32 v50, 1, v50                              // 0000000060B0: 24646481
	v_add_u32_e32 v51, v50, v51                                // 0000000060B4: 68666732
	v_lshlrev_b32_e32 v50, 2, v51                              // 0000000060B8: 24646682
	ds_read_b64 v[128:129], v50 offset:18688                   // 0000000060BC: D8EC4900 80000032
	ds_read_b64 v[130:131], v50 offset:18816                   // 0000000060C4: D8EC4980 82000032
	ds_read_b64 v[132:133], v50 offset:19712                   // 0000000060CC: D8EC4D00 84000032
	ds_read_b64 v[134:135], v50 offset:19840                   // 0000000060D4: D8EC4D80 86000032
	ds_read_b64 v[136:137], v50 offset:20736                   // 0000000060DC: D8EC5100 88000032
	ds_read_b64 v[138:139], v50 offset:20864                   // 0000000060E4: D8EC5180 8A000032
	ds_read_b64 v[140:141], v50 offset:21760                   // 0000000060EC: D8EC5500 8C000032
	ds_read_b64 v[142:143], v50 offset:21888                   // 0000000060F4: D8EC5580 8E000032
	ds_read_b64 v[144:145], v50 offset:22784                   // 0000000060FC: D8EC5900 90000032
	ds_read_b64 v[146:147], v50 offset:22912                   // 000000006104: D8EC5980 92000032
	ds_read_b64 v[148:149], v50 offset:23808                   // 00000000610C: D8EC5D00 94000032
	ds_read_b64 v[150:151], v50 offset:23936                   // 000000006114: D8EC5D80 96000032
	ds_read_b64 v[152:153], v50 offset:24832                   // 00000000611C: D8EC6100 98000032
	ds_read_b64 v[154:155], v50 offset:24960                   // 000000006124: D8EC6180 9A000032
	ds_read_b64 v[156:157], v50 offset:25856                   // 00000000612C: D8EC6500 9C000032
	ds_read_b64 v[158:159], v50 offset:25984                   // 000000006134: D8EC6580 9E000032
	ds_read_b64 v[160:161], v50 offset:26880                   // 00000000613C: D8EC6900 A0000032
	ds_read_b64 v[162:163], v50 offset:27008                   // 000000006144: D8EC6980 A2000032
	ds_read_b64 v[164:165], v50 offset:27904                   // 00000000614C: D8EC6D00 A4000032
	ds_read_b64 v[166:167], v50 offset:28032                   // 000000006154: D8EC6D80 A6000032
	ds_read_b64 v[168:169], v50 offset:28928                   // 00000000615C: D8EC7100 A8000032
	ds_read_b64 v[170:171], v50 offset:29056                   // 000000006164: D8EC7180 AA000032
	ds_read_b64 v[172:173], v50 offset:29952                   // 00000000616C: D8EC7500 AC000032
	ds_read_b64 v[174:175], v50 offset:30080                   // 000000006174: D8EC7580 AE000032
	s_add_u32 s12, s56, s12                                    // 00000000617C: 800C0C38
	s_addc_u32 s13, 0, s13                                     // 000000006180: 820D0D80
	s_add_u32 s16, s79, s16                                    // 000000006184: 8010104F
	s_addc_u32 s17, 0, s17                                     // 000000006188: 82111180
	s_mov_b32 s80, 0                                           // 00000000618C: BED00080
	s_waitcnt vmcnt(0) expcnt(0) lgkmcnt(0)                    // 000000006190: BF8C0000

0000000000006194 <label_0CE5>:
	s_waitcnt vmcnt(37)                                        // 000000006194: BF8C8F75
	s_barrier                                                  // 000000006198: BF8A0000
	v_mfma_i32_16x16x32_i8 v[176:179], a[0:1], v[128:129], 0   // 00000000619C: D3D700B0 0A030100
	v_mfma_i32_16x16x32_i8 v[176:179], a[2:3], v[130:131], v[176:179]// 0000000061A4: D3D700B0 0EC30502
	buffer_load_dwordx4 a[96:99], v40, s[12:15], 0 offen       // 0000000061AC: E05C1000 80836028
	v_mfma_i32_16x16x32_i8 v[180:183], a[0:1], v[152:153], 0   // 0000000061B4: D3D700B4 0A033100
	v_mfma_i32_16x16x32_i8 v[180:183], a[2:3], v[154:155], v[180:183]// 0000000061BC: D3D700B4 0ED33502
	v_mfma_i32_16x16x32_i8 v[184:187], a[4:5], v[128:129], 0   // 0000000061C4: D3D700B8 0A030104
	v_mfma_i32_16x16x32_i8 v[184:187], a[6:7], v[130:131], v[184:187]// 0000000061CC: D3D700B8 0EE30506
	buffer_load_dwordx4 a[100:103], v41, s[12:15], 0 offen     // 0000000061D4: E05C1000 80836429
	v_mfma_i32_16x16x32_i8 v[188:191], a[4:5], v[152:153], 0   // 0000000061DC: D3D700BC 0A033104
	v_mfma_i32_16x16x32_i8 v[188:191], a[6:7], v[154:155], v[188:191]// 0000000061E4: D3D700BC 0EF33506
	v_mfma_i32_16x16x32_i8 v[192:195], a[8:9], v[128:129], 0   // 0000000061EC: D3D700C0 0A030108
	v_mfma_i32_16x16x32_i8 v[192:195], a[10:11], v[130:131], v[192:195]// 0000000061F4: D3D700C0 0F03050A
	buffer_load_dwordx4 a[104:107], v42, s[12:15], 0 offen     // 0000000061FC: E05C1000 8083682A
	v_mfma_i32_16x16x32_i8 v[196:199], a[8:9], v[152:153], 0   // 000000006204: D3D700C4 0A033108
	v_mfma_i32_16x16x32_i8 v[196:199], a[10:11], v[154:155], v[196:199]// 00000000620C: D3D700C4 0F13350A
	v_mfma_i32_16x16x32_i8 v[200:203], a[12:13], v[128:129], 0 // 000000006214: D3D700C8 0A03010C
	v_mfma_i32_16x16x32_i8 v[200:203], a[14:15], v[130:131], v[200:203]// 00000000621C: D3D700C8 0F23050E
	buffer_load_dwordx4 a[108:111], v43, s[12:15], 0 offen     // 000000006224: E05C1000 80836C2B
	s_add_u32 s12, s78, s12                                    // 00000000622C: 800C0C4E
	s_addc_u32 s13, 0, s13                                     // 000000006230: 820D0D80
	v_mfma_i32_16x16x32_i8 v[204:207], a[12:13], v[152:153], 0 // 000000006234: D3D700CC 0A03310C
	v_mfma_i32_16x16x32_i8 v[204:207], a[14:15], v[154:155], v[204:207]// 00000000623C: D3D700CC 0F33350E
	s_waitcnt vmcnt(37)                                        // 000000006244: BF8C8F75
	v_mfma_i32_16x16x32_i8 v[176:179], a[16:17], v[132:133], v[176:179]// 000000006248: D3D700B0 0EC30910
	v_mfma_i32_16x16x32_i8 v[176:179], a[18:19], v[134:135], v[176:179]// 000000006250: D3D700B0 0EC30D12
	buffer_load_dwordx4 a[112:115], v40, s[12:15], 0 offen     // 000000006258: E05C1000 80837028
	v_mfma_i32_16x16x32_i8 v[180:183], a[16:17], v[156:157], v[180:183]// 000000006260: D3D700B4 0ED33910
	v_mfma_i32_16x16x32_i8 v[180:183], a[18:19], v[158:159], v[180:183]// 000000006268: D3D700B4 0ED33D12
	v_mfma_i32_16x16x32_i8 v[184:187], a[20:21], v[132:133], v[184:187]// 000000006270: D3D700B8 0EE30914
	v_mfma_i32_16x16x32_i8 v[184:187], a[22:23], v[134:135], v[184:187]// 000000006278: D3D700B8 0EE30D16
	buffer_load_dwordx4 a[116:119], v41, s[12:15], 0 offen     // 000000006280: E05C1000 80837429
	v_mfma_i32_16x16x32_i8 v[188:191], a[20:21], v[156:157], v[188:191]// 000000006288: D3D700BC 0EF33914
	v_mfma_i32_16x16x32_i8 v[188:191], a[22:23], v[158:159], v[188:191]// 000000006290: D3D700BC 0EF33D16
	v_mfma_i32_16x16x32_i8 v[192:195], a[24:25], v[132:133], v[192:195]// 000000006298: D3D700C0 0F030918
	v_mfma_i32_16x16x32_i8 v[192:195], a[26:27], v[134:135], v[192:195]// 0000000062A0: D3D700C0 0F030D1A
	buffer_load_dwordx4 a[120:123], v42, s[12:15], 0 offen     // 0000000062A8: E05C1000 8083782A
	v_mfma_i32_16x16x32_i8 v[196:199], a[24:25], v[156:157], v[196:199]// 0000000062B0: D3D700C4 0F133918
	v_mfma_i32_16x16x32_i8 v[196:199], a[26:27], v[158:159], v[196:199]// 0000000062B8: D3D700C4 0F133D1A
	v_mfma_i32_16x16x32_i8 v[200:203], a[28:29], v[132:133], v[200:203]// 0000000062C0: D3D700C8 0F23091C
	v_mfma_i32_16x16x32_i8 v[200:203], a[30:31], v[134:135], v[200:203]// 0000000062C8: D3D700C8 0F230D1E
	buffer_load_dwordx4 a[124:127], v43, s[12:15], 0 offen     // 0000000062D0: E05C1000 80837C2B
	s_add_u32 s12, s78, s12                                    // 0000000062D8: 800C0C4E
	s_addc_u32 s13, 0, s13                                     // 0000000062DC: 820D0D80
	v_mfma_i32_16x16x32_i8 v[204:207], a[28:29], v[156:157], v[204:207]// 0000000062E0: D3D700CC 0F33391C
	v_mfma_i32_16x16x32_i8 v[204:207], a[30:31], v[158:159], v[204:207]// 0000000062E8: D3D700CC 0F333D1E
	s_waitcnt vmcnt(37)                                        // 0000000062F0: BF8C8F75
	v_mfma_i32_16x16x32_i8 v[176:179], a[32:33], v[136:137], v[176:179]// 0000000062F4: D3D700B0 0EC31120
	v_mfma_i32_16x16x32_i8 v[176:179], a[34:35], v[138:139], v[176:179]// 0000000062FC: D3D700B0 0EC31522
	buffer_load_dwordx4 a[128:131], v40, s[12:15], 0 offen     // 000000006304: E05C1000 80838028
	v_mfma_i32_16x16x32_i8 v[180:183], a[32:33], v[160:161], v[180:183]// 00000000630C: D3D700B4 0ED34120
	v_mfma_i32_16x16x32_i8 v[180:183], a[34:35], v[162:163], v[180:183]// 000000006314: D3D700B4 0ED34522
	v_mfma_i32_16x16x32_i8 v[184:187], a[36:37], v[136:137], v[184:187]// 00000000631C: D3D700B8 0EE31124
	v_mfma_i32_16x16x32_i8 v[184:187], a[38:39], v[138:139], v[184:187]// 000000006324: D3D700B8 0EE31526
	buffer_load_dwordx4 a[132:135], v41, s[12:15], 0 offen     // 00000000632C: E05C1000 80838429
	v_mfma_i32_16x16x32_i8 v[188:191], a[36:37], v[160:161], v[188:191]// 000000006334: D3D700BC 0EF34124
	v_mfma_i32_16x16x32_i8 v[188:191], a[38:39], v[162:163], v[188:191]// 00000000633C: D3D700BC 0EF34526
	v_mfma_i32_16x16x32_i8 v[192:195], a[40:41], v[136:137], v[192:195]// 000000006344: D3D700C0 0F031128
	v_mfma_i32_16x16x32_i8 v[192:195], a[42:43], v[138:139], v[192:195]// 00000000634C: D3D700C0 0F03152A
	buffer_load_dwordx4 a[136:139], v42, s[12:15], 0 offen     // 000000006354: E05C1000 8083882A
	v_mfma_i32_16x16x32_i8 v[196:199], a[40:41], v[160:161], v[196:199]// 00000000635C: D3D700C4 0F134128
	v_mfma_i32_16x16x32_i8 v[196:199], a[42:43], v[162:163], v[196:199]// 000000006364: D3D700C4 0F13452A
	v_mfma_i32_16x16x32_i8 v[200:203], a[44:45], v[136:137], v[200:203]// 00000000636C: D3D700C8 0F23112C
	v_mfma_i32_16x16x32_i8 v[200:203], a[46:47], v[138:139], v[200:203]// 000000006374: D3D700C8 0F23152E
	buffer_load_dwordx4 a[140:143], v43, s[12:15], 0 offen     // 00000000637C: E05C1000 80838C2B
	s_add_u32 s12, s78, s12                                    // 000000006384: 800C0C4E
	s_addc_u32 s13, 0, s13                                     // 000000006388: 820D0D80
	v_mfma_i32_16x16x32_i8 v[204:207], a[44:45], v[160:161], v[204:207]// 00000000638C: D3D700CC 0F33412C
	v_mfma_i32_16x16x32_i8 v[204:207], a[46:47], v[162:163], v[204:207]// 000000006394: D3D700CC 0F33452E
	s_waitcnt vmcnt(37)                                        // 00000000639C: BF8C8F75
	v_mfma_i32_16x16x32_i8 v[176:179], a[48:49], v[140:141], v[176:179]// 0000000063A0: D3D700B0 0EC31930
	v_mfma_i32_16x16x32_i8 v[176:179], a[50:51], v[142:143], v[176:179]// 0000000063A8: D3D700B0 0EC31D32
	buffer_load_dwordx4 a[144:147], v40, s[12:15], 0 offen     // 0000000063B0: E05C1000 80839028
	v_mfma_i32_16x16x32_i8 v[180:183], a[48:49], v[164:165], v[180:183]// 0000000063B8: D3D700B4 0ED34930
	v_mfma_i32_16x16x32_i8 v[180:183], a[50:51], v[166:167], v[180:183]// 0000000063C0: D3D700B4 0ED34D32
	v_mfma_i32_16x16x32_i8 v[184:187], a[52:53], v[140:141], v[184:187]// 0000000063C8: D3D700B8 0EE31934
	v_mfma_i32_16x16x32_i8 v[184:187], a[54:55], v[142:143], v[184:187]// 0000000063D0: D3D700B8 0EE31D36
	buffer_load_dwordx4 a[148:151], v41, s[12:15], 0 offen     // 0000000063D8: E05C1000 80839429
	v_mfma_i32_16x16x32_i8 v[188:191], a[52:53], v[164:165], v[188:191]// 0000000063E0: D3D700BC 0EF34934
	v_mfma_i32_16x16x32_i8 v[188:191], a[54:55], v[166:167], v[188:191]// 0000000063E8: D3D700BC 0EF34D36
	v_mfma_i32_16x16x32_i8 v[192:195], a[56:57], v[140:141], v[192:195]// 0000000063F0: D3D700C0 0F031938
	v_mfma_i32_16x16x32_i8 v[192:195], a[58:59], v[142:143], v[192:195]// 0000000063F8: D3D700C0 0F031D3A
	buffer_load_dwordx4 a[152:155], v42, s[12:15], 0 offen     // 000000006400: E05C1000 8083982A
	v_mfma_i32_16x16x32_i8 v[196:199], a[56:57], v[164:165], v[196:199]// 000000006408: D3D700C4 0F134938
	v_mfma_i32_16x16x32_i8 v[196:199], a[58:59], v[166:167], v[196:199]// 000000006410: D3D700C4 0F134D3A
	v_mfma_i32_16x16x32_i8 v[200:203], a[60:61], v[140:141], v[200:203]// 000000006418: D3D700C8 0F23193C
	v_mfma_i32_16x16x32_i8 v[200:203], a[62:63], v[142:143], v[200:203]// 000000006420: D3D700C8 0F231D3E
	buffer_load_dwordx4 a[156:159], v43, s[12:15], 0 offen     // 000000006428: E05C1000 80839C2B
	s_add_u32 s12, s78, s12                                    // 000000006430: 800C0C4E
	s_addc_u32 s13, 0, s13                                     // 000000006434: 820D0D80
	v_mfma_i32_16x16x32_i8 v[204:207], a[60:61], v[164:165], v[204:207]// 000000006438: D3D700CC 0F33493C
	v_mfma_i32_16x16x32_i8 v[204:207], a[62:63], v[166:167], v[204:207]// 000000006440: D3D700CC 0F334D3E
	s_waitcnt vmcnt(37)                                        // 000000006448: BF8C8F75
	v_mfma_i32_16x16x32_i8 v[176:179], a[64:65], v[144:145], v[176:179]// 00000000644C: D3D700B0 0EC32140
	v_mfma_i32_16x16x32_i8 v[176:179], a[66:67], v[146:147], v[176:179]// 000000006454: D3D700B0 0EC32542
	buffer_load_dwordx4 a[160:163], v40, s[12:15], 0 offen     // 00000000645C: E05C1000 8083A028
	v_mfma_i32_16x16x32_i8 v[180:183], a[64:65], v[168:169], v[180:183]// 000000006464: D3D700B4 0ED35140
	v_mfma_i32_16x16x32_i8 v[180:183], a[66:67], v[170:171], v[180:183]// 00000000646C: D3D700B4 0ED35542
	v_mfma_i32_16x16x32_i8 v[184:187], a[68:69], v[144:145], v[184:187]// 000000006474: D3D700B8 0EE32144
	v_mfma_i32_16x16x32_i8 v[184:187], a[70:71], v[146:147], v[184:187]// 00000000647C: D3D700B8 0EE32546
	buffer_load_dwordx4 a[164:167], v41, s[12:15], 0 offen     // 000000006484: E05C1000 8083A429
	v_mfma_i32_16x16x32_i8 v[188:191], a[68:69], v[168:169], v[188:191]// 00000000648C: D3D700BC 0EF35144
	v_mfma_i32_16x16x32_i8 v[188:191], a[70:71], v[170:171], v[188:191]// 000000006494: D3D700BC 0EF35546
	v_mfma_i32_16x16x32_i8 v[192:195], a[72:73], v[144:145], v[192:195]// 00000000649C: D3D700C0 0F032148
	v_mfma_i32_16x16x32_i8 v[192:195], a[74:75], v[146:147], v[192:195]// 0000000064A4: D3D700C0 0F03254A
	buffer_load_dwordx4 a[168:171], v42, s[12:15], 0 offen     // 0000000064AC: E05C1000 8083A82A
	v_mfma_i32_16x16x32_i8 v[196:199], a[72:73], v[168:169], v[196:199]// 0000000064B4: D3D700C4 0F135148
	v_mfma_i32_16x16x32_i8 v[196:199], a[74:75], v[170:171], v[196:199]// 0000000064BC: D3D700C4 0F13554A
	v_mfma_i32_16x16x32_i8 v[200:203], a[76:77], v[144:145], v[200:203]// 0000000064C4: D3D700C8 0F23214C
	v_mfma_i32_16x16x32_i8 v[200:203], a[78:79], v[146:147], v[200:203]// 0000000064CC: D3D700C8 0F23254E
	buffer_load_dwordx4 a[172:175], v43, s[12:15], 0 offen     // 0000000064D4: E05C1000 8083AC2B
	s_add_u32 s12, s78, s12                                    // 0000000064DC: 800C0C4E
	s_addc_u32 s13, 0, s13                                     // 0000000064E0: 820D0D80
	v_mfma_i32_16x16x32_i8 v[204:207], a[76:77], v[168:169], v[204:207]// 0000000064E4: D3D700CC 0F33514C
	v_mfma_i32_16x16x32_i8 v[204:207], a[78:79], v[170:171], v[204:207]// 0000000064EC: D3D700CC 0F33554E
	s_waitcnt vmcnt(36)                                        // 0000000064F4: BF8C8F74
	v_mfma_i32_16x16x32_i8 v[176:179], a[80:81], v[148:149], v[176:179]// 0000000064F8: D3D700B0 0EC32950
	v_mfma_i32_16x16x32_i8 v[176:179], a[82:83], v[150:151], v[176:179]// 000000006500: D3D700B0 0EC32D52
	buffer_load_dwordx4 a[176:179], v40, s[12:15], 0 offen     // 000000006508: E05C1000 8083B028
	v_mfma_i32_16x16x32_i8 v[180:183], a[80:81], v[172:173], v[180:183]// 000000006510: D3D700B4 0ED35950
	v_mfma_i32_16x16x32_i8 v[180:183], a[82:83], v[174:175], v[180:183]// 000000006518: D3D700B4 0ED35D52
	buffer_load_dword v13, v5, s[16:19], 0 offen               // 000000006520: E0501000 80040D05
	v_mfma_i32_16x16x32_i8 v[184:187], a[84:85], v[148:149], v[184:187]// 000000006528: D3D700B8 0EE32954
	v_mfma_i32_16x16x32_i8 v[184:187], a[86:87], v[150:151], v[184:187]// 000000006530: D3D700B8 0EE32D56
	buffer_load_dwordx4 a[180:183], v41, s[12:15], 0 offen     // 000000006538: E05C1000 8083B429
	v_mfma_i32_16x16x32_i8 v[188:191], a[84:85], v[172:173], v[188:191]// 000000006540: D3D700BC 0EF35954
	v_mfma_i32_16x16x32_i8 v[188:191], a[86:87], v[174:175], v[188:191]// 000000006548: D3D700BC 0EF35D56
	v_mfma_i32_16x16x32_i8 v[192:195], a[88:89], v[148:149], v[192:195]// 000000006550: D3D700C0 0F032958
	v_mfma_i32_16x16x32_i8 v[192:195], a[90:91], v[150:151], v[192:195]// 000000006558: D3D700C0 0F032D5A
	buffer_load_dwordx4 a[184:187], v42, s[12:15], 0 offen     // 000000006560: E05C1000 8083B82A
	v_mfma_i32_16x16x32_i8 v[196:199], a[88:89], v[172:173], v[196:199]// 000000006568: D3D700C4 0F135958
	v_mfma_i32_16x16x32_i8 v[196:199], a[90:91], v[174:175], v[196:199]// 000000006570: D3D700C4 0F135D5A
	v_mfma_i32_16x16x32_i8 v[200:203], a[92:93], v[148:149], v[200:203]// 000000006578: D3D700C8 0F23295C
	v_mfma_i32_16x16x32_i8 v[200:203], a[94:95], v[150:151], v[200:203]// 000000006580: D3D700C8 0F232D5E
	buffer_load_dwordx4 a[188:191], v43, s[12:15], 0 offen     // 000000006588: E05C1000 8083BC2B
	v_mfma_i32_16x16x32_i8 v[204:207], a[92:93], v[172:173], v[204:207]// 000000006590: D3D700CC 0F33595C
	v_mfma_i32_16x16x32_i8 v[204:207], a[94:95], v[174:175], v[204:207]// 000000006598: D3D700CC 0F335D5E
	s_add_u32 s60, 0x200, s80                                  // 0000000065A0: 803C50FF 00000200
	s_cmp_lt_u32 s60, s81                                      // 0000000065A8: BF0A513C
	s_cselect_b32 s56, s56, 0                                  // 0000000065AC: 85388038
	s_cselect_b32 s78, s78, 0                                  // 0000000065B0: 854E804E
	s_cselect_b32 s79, s79, 0                                  // 0000000065B4: 854F804F
	s_add_u32 s12, s56, s12                                    // 0000000065B8: 800C0C38
	s_addc_u32 s13, 0, s13                                     // 0000000065BC: 820D0D80
	s_add_u32 s16, s79, s16                                    // 0000000065C0: 8010104F
	s_addc_u32 s17, 0, s17                                     // 0000000065C4: 82111180
	v_cvt_f32_i32_e32 v176, v176                               // 0000000065C8: 7F600BB0
	v_cvt_f32_i32_e32 v177, v177                               // 0000000065CC: 7F620BB1
	v_cvt_f32_i32_e32 v178, v178                               // 0000000065D0: 7F640BB2
	v_cvt_f32_i32_e32 v179, v179                               // 0000000065D4: 7F660BB3
	v_mul_f32_e32 v176, v24, v176                              // 0000000065D8: 0B616118
	v_mul_f32_e32 v177, v24, v177                              // 0000000065DC: 0B636318
	v_mul_f32_e32 v178, v24, v178                              // 0000000065E0: 0B656518
	v_mul_f32_e32 v179, v24, v179                              // 0000000065E4: 0B676718
	v_mul_f32_dpp v176, v12, v176 row_newbcast:0 row_mask:0xf bank_mask:0xf// 0000000065E8: 0B6160FA FF01500C
	v_mul_f32_dpp v177, v12, v177 row_newbcast:1 row_mask:0xf bank_mask:0xf// 0000000065F0: 0B6362FA FF01510C
	v_mul_f32_dpp v178, v12, v178 row_newbcast:2 row_mask:0xf bank_mask:0xf// 0000000065F8: 0B6564FA FF01520C
	v_mul_f32_dpp v179, v12, v179 row_newbcast:3 row_mask:0xf bank_mask:0xf// 000000006600: 0B6766FA FF01530C
	v_mul_f32_e32 v176, v20, v176                              // 000000006608: 0B616114
	v_mul_f32_e32 v177, v20, v177                              // 00000000660C: 0B636314
	v_mul_f32_e32 v178, v20, v178                              // 000000006610: 0B656514
	v_mul_f32_e32 v179, v20, v179                              // 000000006614: 0B676714
	v_cvt_f32_i32_e32 v180, v180                               // 000000006618: 7F680BB4
	v_cvt_f32_i32_e32 v181, v181                               // 00000000661C: 7F6A0BB5
	v_cvt_f32_i32_e32 v182, v182                               // 000000006620: 7F6C0BB6
	v_cvt_f32_i32_e32 v183, v183                               // 000000006624: 7F6E0BB7
	v_mul_f32_e32 v180, v25, v180                              // 000000006628: 0B696919
	v_mul_f32_e32 v181, v25, v181                              // 00000000662C: 0B6B6B19
	v_mul_f32_e32 v182, v25, v182                              // 000000006630: 0B6D6D19
	v_mul_f32_e32 v183, v25, v183                              // 000000006634: 0B6F6F19
	v_mul_f32_dpp v180, v12, v180 row_newbcast:0 row_mask:0xf bank_mask:0xf// 000000006638: 0B6968FA FF01500C
	v_mul_f32_dpp v181, v12, v181 row_newbcast:1 row_mask:0xf bank_mask:0xf// 000000006640: 0B6B6AFA FF01510C
	v_mul_f32_dpp v182, v12, v182 row_newbcast:2 row_mask:0xf bank_mask:0xf// 000000006648: 0B6D6CFA FF01520C
	v_mul_f32_dpp v183, v12, v183 row_newbcast:3 row_mask:0xf bank_mask:0xf// 000000006650: 0B6F6EFA FF01530C
	v_mul_f32_e32 v180, v21, v180                              // 000000006658: 0B696915
	v_mul_f32_e32 v181, v21, v181                              // 00000000665C: 0B6B6B15
	v_mul_f32_e32 v182, v21, v182                              // 000000006660: 0B6D6D15
	v_mul_f32_e32 v183, v21, v183                              // 000000006664: 0B6F6F15
	v_cvt_f32_i32_e32 v184, v184                               // 000000006668: 7F700BB8
	v_cvt_f32_i32_e32 v185, v185                               // 00000000666C: 7F720BB9
	v_cvt_f32_i32_e32 v186, v186                               // 000000006670: 7F740BBA
	v_cvt_f32_i32_e32 v187, v187                               // 000000006674: 7F760BBB
	v_mul_f32_e32 v184, v24, v184                              // 000000006678: 0B717118
	v_mul_f32_e32 v185, v24, v185                              // 00000000667C: 0B737318
	v_mul_f32_e32 v186, v24, v186                              // 000000006680: 0B757518
	v_mul_f32_e32 v187, v24, v187                              // 000000006684: 0B777718
	v_mul_f32_dpp v184, v12, v184 row_newbcast:4 row_mask:0xf bank_mask:0xf// 000000006688: 0B7170FA FF01540C
	v_mul_f32_dpp v185, v12, v185 row_newbcast:5 row_mask:0xf bank_mask:0xf// 000000006690: 0B7372FA FF01550C
	v_mul_f32_dpp v186, v12, v186 row_newbcast:6 row_mask:0xf bank_mask:0xf// 000000006698: 0B7574FA FF01560C
	v_mul_f32_dpp v187, v12, v187 row_newbcast:7 row_mask:0xf bank_mask:0xf// 0000000066A0: 0B7776FA FF01570C
	v_mul_f32_e32 v184, v20, v184                              // 0000000066A8: 0B717114
	v_mul_f32_e32 v185, v20, v185                              // 0000000066AC: 0B737314
	v_mul_f32_e32 v186, v20, v186                              // 0000000066B0: 0B757514
	v_mul_f32_e32 v187, v20, v187                              // 0000000066B4: 0B777714
	v_cvt_f32_i32_e32 v188, v188                               // 0000000066B8: 7F780BBC
	v_cvt_f32_i32_e32 v189, v189                               // 0000000066BC: 7F7A0BBD
	v_cvt_f32_i32_e32 v190, v190                               // 0000000066C0: 7F7C0BBE
	v_cvt_f32_i32_e32 v191, v191                               // 0000000066C4: 7F7E0BBF
	v_mul_f32_e32 v188, v25, v188                              // 0000000066C8: 0B797919
	v_mul_f32_e32 v189, v25, v189                              // 0000000066CC: 0B7B7B19
	v_mul_f32_e32 v190, v25, v190                              // 0000000066D0: 0B7D7D19
	v_mul_f32_e32 v191, v25, v191                              // 0000000066D4: 0B7F7F19
	v_mul_f32_dpp v188, v12, v188 row_newbcast:4 row_mask:0xf bank_mask:0xf// 0000000066D8: 0B7978FA FF01540C
	v_mul_f32_dpp v189, v12, v189 row_newbcast:5 row_mask:0xf bank_mask:0xf// 0000000066E0: 0B7B7AFA FF01550C
	v_mul_f32_dpp v190, v12, v190 row_newbcast:6 row_mask:0xf bank_mask:0xf// 0000000066E8: 0B7D7CFA FF01560C
	v_mul_f32_dpp v191, v12, v191 row_newbcast:7 row_mask:0xf bank_mask:0xf// 0000000066F0: 0B7F7EFA FF01570C
	v_mul_f32_e32 v188, v21, v188                              // 0000000066F8: 0B797915
	v_mul_f32_e32 v189, v21, v189                              // 0000000066FC: 0B7B7B15
	v_mul_f32_e32 v190, v21, v190                              // 000000006700: 0B7D7D15
	v_mul_f32_e32 v191, v21, v191                              // 000000006704: 0B7F7F15
	v_cvt_f32_i32_e32 v192, v192                               // 000000006708: 7F800BC0
	v_cvt_f32_i32_e32 v193, v193                               // 00000000670C: 7F820BC1
	v_cvt_f32_i32_e32 v194, v194                               // 000000006710: 7F840BC2
	v_cvt_f32_i32_e32 v195, v195                               // 000000006714: 7F860BC3
	v_mul_f32_e32 v192, v24, v192                              // 000000006718: 0B818118
	v_mul_f32_e32 v193, v24, v193                              // 00000000671C: 0B838318
	v_mul_f32_e32 v194, v24, v194                              // 000000006720: 0B858518
	v_mul_f32_e32 v195, v24, v195                              // 000000006724: 0B878718
	v_mul_f32_dpp v192, v12, v192 row_newbcast:8 row_mask:0xf bank_mask:0xf// 000000006728: 0B8180FA FF01580C
	v_mul_f32_dpp v193, v12, v193 row_newbcast:9 row_mask:0xf bank_mask:0xf// 000000006730: 0B8382FA FF01590C
	v_mul_f32_dpp v194, v12, v194 row_newbcast:10 row_mask:0xf bank_mask:0xf// 000000006738: 0B8584FA FF015A0C
	v_mul_f32_dpp v195, v12, v195 row_newbcast:11 row_mask:0xf bank_mask:0xf// 000000006740: 0B8786FA FF015B0C
	v_mul_f32_e32 v192, v20, v192                              // 000000006748: 0B818114
	v_mul_f32_e32 v193, v20, v193                              // 00000000674C: 0B838314
	v_mul_f32_e32 v194, v20, v194                              // 000000006750: 0B858514
	v_mul_f32_e32 v195, v20, v195                              // 000000006754: 0B878714
	v_cvt_f32_i32_e32 v196, v196                               // 000000006758: 7F880BC4
	v_cvt_f32_i32_e32 v197, v197                               // 00000000675C: 7F8A0BC5
	v_cvt_f32_i32_e32 v198, v198                               // 000000006760: 7F8C0BC6
	v_cvt_f32_i32_e32 v199, v199                               // 000000006764: 7F8E0BC7
	v_mul_f32_e32 v196, v25, v196                              // 000000006768: 0B898919
	v_mul_f32_e32 v197, v25, v197                              // 00000000676C: 0B8B8B19
	v_mul_f32_e32 v198, v25, v198                              // 000000006770: 0B8D8D19
	v_mul_f32_e32 v199, v25, v199                              // 000000006774: 0B8F8F19
	v_mul_f32_dpp v196, v12, v196 row_newbcast:8 row_mask:0xf bank_mask:0xf// 000000006778: 0B8988FA FF01580C
	v_mul_f32_dpp v197, v12, v197 row_newbcast:9 row_mask:0xf bank_mask:0xf// 000000006780: 0B8B8AFA FF01590C
	v_mul_f32_dpp v198, v12, v198 row_newbcast:10 row_mask:0xf bank_mask:0xf// 000000006788: 0B8D8CFA FF015A0C
	v_mul_f32_dpp v199, v12, v199 row_newbcast:11 row_mask:0xf bank_mask:0xf// 000000006790: 0B8F8EFA FF015B0C
	v_mul_f32_e32 v196, v21, v196                              // 000000006798: 0B898915
	v_mul_f32_e32 v197, v21, v197                              // 00000000679C: 0B8B8B15
	v_mul_f32_e32 v198, v21, v198                              // 0000000067A0: 0B8D8D15
	v_mul_f32_e32 v199, v21, v199                              // 0000000067A4: 0B8F8F15
	v_cvt_f32_i32_e32 v200, v200                               // 0000000067A8: 7F900BC8
	v_cvt_f32_i32_e32 v201, v201                               // 0000000067AC: 7F920BC9
	v_cvt_f32_i32_e32 v202, v202                               // 0000000067B0: 7F940BCA
	v_cvt_f32_i32_e32 v203, v203                               // 0000000067B4: 7F960BCB
	v_mul_f32_e32 v200, v24, v200                              // 0000000067B8: 0B919118
	v_mul_f32_e32 v201, v24, v201                              // 0000000067BC: 0B939318
	v_mul_f32_e32 v202, v24, v202                              // 0000000067C0: 0B959518
	v_mul_f32_e32 v203, v24, v203                              // 0000000067C4: 0B979718
	v_mul_f32_dpp v200, v12, v200 row_newbcast:12 row_mask:0xf bank_mask:0xf// 0000000067C8: 0B9190FA FF015C0C
	v_mul_f32_dpp v201, v12, v201 row_newbcast:13 row_mask:0xf bank_mask:0xf// 0000000067D0: 0B9392FA FF015D0C
	v_mul_f32_dpp v202, v12, v202 row_newbcast:14 row_mask:0xf bank_mask:0xf// 0000000067D8: 0B9594FA FF015E0C
	v_mul_f32_dpp v203, v12, v203 row_newbcast:15 row_mask:0xf bank_mask:0xf// 0000000067E0: 0B9796FA FF015F0C
	v_mul_f32_e32 v200, v20, v200                              // 0000000067E8: 0B919114
	v_mul_f32_e32 v201, v20, v201                              // 0000000067EC: 0B939314
	v_mul_f32_e32 v202, v20, v202                              // 0000000067F0: 0B959514
	v_mul_f32_e32 v203, v20, v203                              // 0000000067F4: 0B979714
	v_cvt_f32_i32_e32 v204, v204                               // 0000000067F8: 7F980BCC
	v_cvt_f32_i32_e32 v205, v205                               // 0000000067FC: 7F9A0BCD
	v_cvt_f32_i32_e32 v206, v206                               // 000000006800: 7F9C0BCE
	v_cvt_f32_i32_e32 v207, v207                               // 000000006804: 7F9E0BCF
	v_mul_f32_e32 v204, v25, v204                              // 000000006808: 0B999919
	v_mul_f32_e32 v205, v25, v205                              // 00000000680C: 0B9B9B19
	v_mul_f32_e32 v206, v25, v206                              // 000000006810: 0B9D9D19
	v_mul_f32_e32 v207, v25, v207                              // 000000006814: 0B9F9F19
	v_mul_f32_dpp v204, v12, v204 row_newbcast:12 row_mask:0xf bank_mask:0xf// 000000006818: 0B9998FA FF015C0C
	v_mul_f32_dpp v205, v12, v205 row_newbcast:13 row_mask:0xf bank_mask:0xf// 000000006820: 0B9B9AFA FF015D0C
	v_mul_f32_dpp v206, v12, v206 row_newbcast:14 row_mask:0xf bank_mask:0xf// 000000006828: 0B9D9CFA FF015E0C
	v_mul_f32_dpp v207, v12, v207 row_newbcast:15 row_mask:0xf bank_mask:0xf// 000000006830: 0B9F9EFA FF015F0C
	v_mul_f32_e32 v204, v21, v204                              // 000000006838: 0B999915
	v_mul_f32_e32 v205, v21, v205                              // 00000000683C: 0B9B9B15
	v_mul_f32_e32 v206, v21, v206                              // 000000006840: 0B9D9D15
	v_mul_f32_e32 v207, v21, v207                              // 000000006844: 0B9F9F15
	v_cvt_pkrtz_f16_f32 v176, v176, v177                       // 000000006848: D29600B0 000363B0
	v_cvt_pkrtz_f16_f32 v177, v178, v179                       // 000000006850: D29600B1 000367B2
	v_cvt_pkrtz_f16_f32 v178, v180, v181                       // 000000006858: D29600B2 00036BB4
	v_cvt_pkrtz_f16_f32 v179, v182, v183                       // 000000006860: D29600B3 00036FB6
	v_cvt_pkrtz_f16_f32 v180, v184, v185                       // 000000006868: D29600B4 000373B8
	v_cvt_pkrtz_f16_f32 v181, v186, v187                       // 000000006870: D29600B5 000377BA
	v_cvt_pkrtz_f16_f32 v182, v188, v189                       // 000000006878: D29600B6 00037BBC
	v_cvt_pkrtz_f16_f32 v183, v190, v191                       // 000000006880: D29600B7 00037FBE
	v_cvt_pkrtz_f16_f32 v184, v192, v193                       // 000000006888: D29600B8 000383C0
	v_cvt_pkrtz_f16_f32 v185, v194, v195                       // 000000006890: D29600B9 000387C2
	v_cvt_pkrtz_f16_f32 v186, v196, v197                       // 000000006898: D29600BA 00038BC4
	v_cvt_pkrtz_f16_f32 v187, v198, v199                       // 0000000068A0: D29600BB 00038FC6
	v_cvt_pkrtz_f16_f32 v188, v200, v201                       // 0000000068A8: D29600BC 000393C8
	v_cvt_pkrtz_f16_f32 v189, v202, v203                       // 0000000068B0: D29600BD 000397CA
	v_cvt_pkrtz_f16_f32 v190, v204, v205                       // 0000000068B8: D29600BE 00039BCC
	v_cvt_pkrtz_f16_f32 v191, v206, v207                       // 0000000068C0: D29600BF 00039FCE
	ds_write_b64 v3, v[176:177] offset:30976                   // 0000000068C8: D89A7900 0000B003
	ds_write_b64 v3, v[178:179] offset:39680                   // 0000000068D0: D89A9B00 0000B203
	ds_write_b64 v3, v[180:181] offset:33152                   // 0000000068D8: D89A8180 0000B403
	ds_write_b64 v3, v[182:183] offset:41856                   // 0000000068E0: D89AA380 0000B603
	ds_write_b64 v3, v[184:185] offset:35328                   // 0000000068E8: D89A8A00 0000B803
	ds_write_b64 v3, v[186:187] offset:44032                   // 0000000068F0: D89AAC00 0000BA03
	ds_write_b64 v3, v[188:189] offset:37504                   // 0000000068F8: D89A9280 0000BC03
	ds_write_b64 v3, v[190:191] offset:46208                   // 000000006900: D89AB480 0000BE03
	s_waitcnt lgkmcnt(0)                                       // 000000006908: BF8CC07F
	s_barrier                                                  // 00000000690C: BF8A0000
	ds_read_b32 v64, v4 offset:30976                           // 000000006910: D86C7900 40000004
	ds_read_b32 v65, v4 offset:35328                           // 000000006918: D86C8A00 41000004
	ds_read_b32 v66, v4 offset:31008                           // 000000006920: D86C7920 42000004
	ds_read_b32 v67, v4 offset:35360                           // 000000006928: D86C8A20 43000004
	ds_read_b32 v68, v4 offset:31040                           // 000000006930: D86C7940 44000004
	ds_read_b32 v69, v4 offset:35392                           // 000000006938: D86C8A40 45000004
	ds_read_b32 v70, v4 offset:31072                           // 000000006940: D86C7960 46000004
	ds_read_b32 v71, v4 offset:35424                           // 000000006948: D86C8A60 47000004
	ds_read_b32 v72, v4 offset:39680                           // 000000006950: D86C9B00 48000004
	ds_read_b32 v73, v4 offset:44032                           // 000000006958: D86CAC00 49000004
	ds_read_b32 v74, v4 offset:39712                           // 000000006960: D86C9B20 4A000004
	ds_read_b32 v75, v4 offset:44064                           // 000000006968: D86CAC20 4B000004
	ds_read_b32 v76, v4 offset:39744                           // 000000006970: D86C9B40 4C000004
	ds_read_b32 v77, v4 offset:44096                           // 000000006978: D86CAC40 4D000004
	ds_read_b32 v78, v4 offset:39776                           // 000000006980: D86C9B60 4E000004
	ds_read_b32 v79, v4 offset:44128                           // 000000006988: D86CAC60 4F000004
	s_waitcnt lgkmcnt(0)                                       // 000000006990: BF8CC07F
	s_mov_b64 exec, s[20:21]                                   // 000000006994: BEFE0114
	global_atomic_pk_add_f16 v80, v64, s[8:9]                  // 000000006998: DD388000 00084050
	s_mov_b64 exec, s[36:37]                                   // 0000000069A0: BEFE0124
	s_mov_b64 exec, s[20:21]                                   // 0000000069A4: BEFE0114
	global_atomic_pk_add_f16 v80, v65, s[8:9] offset:256       // 0000000069A8: DD388100 00084150
	s_mov_b64 exec, s[36:37]                                   // 0000000069B0: BEFE0124
	s_mov_b64 exec, s[22:23]                                   // 0000000069B4: BEFE0116
	global_atomic_pk_add_f16 v82, v66, s[8:9]                  // 0000000069B8: DD388000 00084252
	s_mov_b64 exec, s[36:37]                                   // 0000000069C0: BEFE0124
	s_mov_b64 exec, s[22:23]                                   // 0000000069C4: BEFE0116
	global_atomic_pk_add_f16 v82, v67, s[8:9] offset:256       // 0000000069C8: DD388100 00084352
	s_mov_b64 exec, s[36:37]                                   // 0000000069D0: BEFE0124
	s_mov_b64 exec, s[24:25]                                   // 0000000069D4: BEFE0118
	global_atomic_pk_add_f16 v84, v68, s[8:9]                  // 0000000069D8: DD388000 00084454
	s_mov_b64 exec, s[36:37]                                   // 0000000069E0: BEFE0124
	s_mov_b64 exec, s[24:25]                                   // 0000000069E4: BEFE0118
	global_atomic_pk_add_f16 v84, v69, s[8:9] offset:256       // 0000000069E8: DD388100 00084554
	s_mov_b64 exec, s[36:37]                                   // 0000000069F0: BEFE0124
	s_mov_b64 exec, s[26:27]                                   // 0000000069F4: BEFE011A
	global_atomic_pk_add_f16 v86, v70, s[8:9]                  // 0000000069F8: DD388000 00084656
	s_mov_b64 exec, s[36:37]                                   // 000000006A00: BEFE0124
	s_mov_b64 exec, s[26:27]                                   // 000000006A04: BEFE011A
	global_atomic_pk_add_f16 v86, v71, s[8:9] offset:256       // 000000006A08: DD388100 00084756
	s_mov_b64 exec, s[36:37]                                   // 000000006A10: BEFE0124
	s_mov_b64 exec, s[28:29]                                   // 000000006A14: BEFE011C
	global_atomic_pk_add_f16 v88, v72, s[8:9]                  // 000000006A18: DD388000 00084858
	s_mov_b64 exec, s[36:37]                                   // 000000006A20: BEFE0124
	s_mov_b64 exec, s[28:29]                                   // 000000006A24: BEFE011C
	global_atomic_pk_add_f16 v88, v73, s[8:9] offset:256       // 000000006A28: DD388100 00084958
	s_mov_b64 exec, s[36:37]                                   // 000000006A30: BEFE0124
	s_mov_b64 exec, s[30:31]                                   // 000000006A34: BEFE011E
	global_atomic_pk_add_f16 v90, v74, s[8:9]                  // 000000006A38: DD388000 00084A5A
	s_mov_b64 exec, s[36:37]                                   // 000000006A40: BEFE0124
	s_mov_b64 exec, s[30:31]                                   // 000000006A44: BEFE011E
	global_atomic_pk_add_f16 v90, v75, s[8:9] offset:256       // 000000006A48: DD388100 00084B5A
	s_mov_b64 exec, s[36:37]                                   // 000000006A50: BEFE0124
	s_mov_b64 exec, s[32:33]                                   // 000000006A54: BEFE0120
	global_atomic_pk_add_f16 v92, v76, s[8:9]                  // 000000006A58: DD388000 00084C5C
	s_mov_b64 exec, s[36:37]                                   // 000000006A60: BEFE0124
	s_mov_b64 exec, s[32:33]                                   // 000000006A64: BEFE0120
	global_atomic_pk_add_f16 v92, v77, s[8:9] offset:256       // 000000006A68: DD388100 00084D5C
	s_mov_b64 exec, s[36:37]                                   // 000000006A70: BEFE0124
	s_mov_b64 exec, s[34:35]                                   // 000000006A74: BEFE0122
	global_atomic_pk_add_f16 v94, v78, s[8:9]                  // 000000006A78: DD388000 00084E5E
	s_mov_b64 exec, s[36:37]                                   // 000000006A80: BEFE0124
	s_mov_b64 exec, s[34:35]                                   // 000000006A84: BEFE0122
	global_atomic_pk_add_f16 v94, v79, s[8:9] offset:256       // 000000006A88: DD388100 00084F5E
	s_mov_b64 exec, s[36:37]                                   // 000000006A90: BEFE0124
	s_add_u32 s8, s59, s8                                      // 000000006A94: 8008083B
	s_addc_u32 s9, 0, s9                                       // 000000006A98: 82090980
	s_addk_i32 s80, 0x100                                      // 000000006A9C: B7500100
	s_cmp_lt_i32 s80, s81                                      // 000000006AA0: BF045150
	s_cbranch_scc0 label_1170                                  // 000000006AA4: BF840246
	s_waitcnt vmcnt(37)                                        // 000000006AA8: BF8C8F75
	s_barrier                                                  // 000000006AAC: BF8A0000
	v_mfma_i32_16x16x32_i8 v[208:211], a[96:97], v[128:129], 0 // 000000006AB0: D3D700D0 0A030160
	v_mfma_i32_16x16x32_i8 v[208:211], a[98:99], v[130:131], v[208:211]// 000000006AB8: D3D700D0 0F430562
	buffer_load_dwordx4 a[0:3], v40, s[12:15], 0 offen         // 000000006AC0: E05C1000 80830028
	v_mfma_i32_16x16x32_i8 v[212:215], a[96:97], v[152:153], 0 // 000000006AC8: D3D700D4 0A033160
	v_mfma_i32_16x16x32_i8 v[212:215], a[98:99], v[154:155], v[212:215]// 000000006AD0: D3D700D4 0F533562
	v_mfma_i32_16x16x32_i8 v[216:219], a[100:101], v[128:129], 0// 000000006AD8: D3D700D8 0A030164
	v_mfma_i32_16x16x32_i8 v[216:219], a[102:103], v[130:131], v[216:219]// 000000006AE0: D3D700D8 0F630566
	buffer_load_dwordx4 a[4:7], v41, s[12:15], 0 offen         // 000000006AE8: E05C1000 80830429
	v_mfma_i32_16x16x32_i8 v[220:223], a[100:101], v[152:153], 0// 000000006AF0: D3D700DC 0A033164
	v_mfma_i32_16x16x32_i8 v[220:223], a[102:103], v[154:155], v[220:223]// 000000006AF8: D3D700DC 0F733566
	v_mfma_i32_16x16x32_i8 v[224:227], a[104:105], v[128:129], 0// 000000006B00: D3D700E0 0A030168
	v_mfma_i32_16x16x32_i8 v[224:227], a[106:107], v[130:131], v[224:227]// 000000006B08: D3D700E0 0F83056A
	buffer_load_dwordx4 a[8:11], v42, s[12:15], 0 offen        // 000000006B10: E05C1000 8083082A
	v_mfma_i32_16x16x32_i8 v[228:231], a[104:105], v[152:153], 0// 000000006B18: D3D700E4 0A033168
	v_mfma_i32_16x16x32_i8 v[228:231], a[106:107], v[154:155], v[228:231]// 000000006B20: D3D700E4 0F93356A
	v_mfma_i32_16x16x32_i8 v[232:235], a[108:109], v[128:129], 0// 000000006B28: D3D700E8 0A03016C
	v_mfma_i32_16x16x32_i8 v[232:235], a[110:111], v[130:131], v[232:235]// 000000006B30: D3D700E8 0FA3056E
	buffer_load_dwordx4 a[12:15], v43, s[12:15], 0 offen       // 000000006B38: E05C1000 80830C2B
	s_add_u32 s12, s78, s12                                    // 000000006B40: 800C0C4E
	s_addc_u32 s13, 0, s13                                     // 000000006B44: 820D0D80
	v_mfma_i32_16x16x32_i8 v[236:239], a[108:109], v[152:153], 0// 000000006B48: D3D700EC 0A03316C
	v_mfma_i32_16x16x32_i8 v[236:239], a[110:111], v[154:155], v[236:239]// 000000006B50: D3D700EC 0FB3356E
	s_waitcnt vmcnt(37)                                        // 000000006B58: BF8C8F75
	v_mfma_i32_16x16x32_i8 v[208:211], a[112:113], v[132:133], v[208:211]// 000000006B5C: D3D700D0 0F430970
	v_mfma_i32_16x16x32_i8 v[208:211], a[114:115], v[134:135], v[208:211]// 000000006B64: D3D700D0 0F430D72
	buffer_load_dwordx4 a[16:19], v40, s[12:15], 0 offen       // 000000006B6C: E05C1000 80831028
	v_mfma_i32_16x16x32_i8 v[212:215], a[112:113], v[156:157], v[212:215]// 000000006B74: D3D700D4 0F533970
	v_mfma_i32_16x16x32_i8 v[212:215], a[114:115], v[158:159], v[212:215]// 000000006B7C: D3D700D4 0F533D72
	v_mfma_i32_16x16x32_i8 v[216:219], a[116:117], v[132:133], v[216:219]// 000000006B84: D3D700D8 0F630974
	v_mfma_i32_16x16x32_i8 v[216:219], a[118:119], v[134:135], v[216:219]// 000000006B8C: D3D700D8 0F630D76
	buffer_load_dwordx4 a[20:23], v41, s[12:15], 0 offen       // 000000006B94: E05C1000 80831429
	v_mfma_i32_16x16x32_i8 v[220:223], a[116:117], v[156:157], v[220:223]// 000000006B9C: D3D700DC 0F733974
	v_mfma_i32_16x16x32_i8 v[220:223], a[118:119], v[158:159], v[220:223]// 000000006BA4: D3D700DC 0F733D76
	v_mfma_i32_16x16x32_i8 v[224:227], a[120:121], v[132:133], v[224:227]// 000000006BAC: D3D700E0 0F830978
	v_mfma_i32_16x16x32_i8 v[224:227], a[122:123], v[134:135], v[224:227]// 000000006BB4: D3D700E0 0F830D7A
	buffer_load_dwordx4 a[24:27], v42, s[12:15], 0 offen       // 000000006BBC: E05C1000 8083182A
	v_mfma_i32_16x16x32_i8 v[228:231], a[120:121], v[156:157], v[228:231]// 000000006BC4: D3D700E4 0F933978
	v_mfma_i32_16x16x32_i8 v[228:231], a[122:123], v[158:159], v[228:231]// 000000006BCC: D3D700E4 0F933D7A
	v_mfma_i32_16x16x32_i8 v[232:235], a[124:125], v[132:133], v[232:235]// 000000006BD4: D3D700E8 0FA3097C
	v_mfma_i32_16x16x32_i8 v[232:235], a[126:127], v[134:135], v[232:235]// 000000006BDC: D3D700E8 0FA30D7E
	buffer_load_dwordx4 a[28:31], v43, s[12:15], 0 offen       // 000000006BE4: E05C1000 80831C2B
	s_add_u32 s12, s78, s12                                    // 000000006BEC: 800C0C4E
	s_addc_u32 s13, 0, s13                                     // 000000006BF0: 820D0D80
	v_mfma_i32_16x16x32_i8 v[236:239], a[124:125], v[156:157], v[236:239]// 000000006BF4: D3D700EC 0FB3397C
	v_mfma_i32_16x16x32_i8 v[236:239], a[126:127], v[158:159], v[236:239]// 000000006BFC: D3D700EC 0FB33D7E
	s_waitcnt vmcnt(37)                                        // 000000006C04: BF8C8F75
	v_mfma_i32_16x16x32_i8 v[208:211], a[128:129], v[136:137], v[208:211]// 000000006C08: D3D700D0 0F431180
	v_mfma_i32_16x16x32_i8 v[208:211], a[130:131], v[138:139], v[208:211]// 000000006C10: D3D700D0 0F431582
	buffer_load_dwordx4 a[32:35], v40, s[12:15], 0 offen       // 000000006C18: E05C1000 80832028
	v_mfma_i32_16x16x32_i8 v[212:215], a[128:129], v[160:161], v[212:215]// 000000006C20: D3D700D4 0F534180
	v_mfma_i32_16x16x32_i8 v[212:215], a[130:131], v[162:163], v[212:215]// 000000006C28: D3D700D4 0F534582
	v_mfma_i32_16x16x32_i8 v[216:219], a[132:133], v[136:137], v[216:219]// 000000006C30: D3D700D8 0F631184
	v_mfma_i32_16x16x32_i8 v[216:219], a[134:135], v[138:139], v[216:219]// 000000006C38: D3D700D8 0F631586
	buffer_load_dwordx4 a[36:39], v41, s[12:15], 0 offen       // 000000006C40: E05C1000 80832429
	v_mfma_i32_16x16x32_i8 v[220:223], a[132:133], v[160:161], v[220:223]// 000000006C48: D3D700DC 0F734184
	v_mfma_i32_16x16x32_i8 v[220:223], a[134:135], v[162:163], v[220:223]// 000000006C50: D3D700DC 0F734586
	v_mfma_i32_16x16x32_i8 v[224:227], a[136:137], v[136:137], v[224:227]// 000000006C58: D3D700E0 0F831188
	v_mfma_i32_16x16x32_i8 v[224:227], a[138:139], v[138:139], v[224:227]// 000000006C60: D3D700E0 0F83158A
	buffer_load_dwordx4 a[40:43], v42, s[12:15], 0 offen       // 000000006C68: E05C1000 8083282A
	v_mfma_i32_16x16x32_i8 v[228:231], a[136:137], v[160:161], v[228:231]// 000000006C70: D3D700E4 0F934188
	v_mfma_i32_16x16x32_i8 v[228:231], a[138:139], v[162:163], v[228:231]// 000000006C78: D3D700E4 0F93458A
	v_mfma_i32_16x16x32_i8 v[232:235], a[140:141], v[136:137], v[232:235]// 000000006C80: D3D700E8 0FA3118C
	v_mfma_i32_16x16x32_i8 v[232:235], a[142:143], v[138:139], v[232:235]// 000000006C88: D3D700E8 0FA3158E
	buffer_load_dwordx4 a[44:47], v43, s[12:15], 0 offen       // 000000006C90: E05C1000 80832C2B
	s_add_u32 s12, s78, s12                                    // 000000006C98: 800C0C4E
	s_addc_u32 s13, 0, s13                                     // 000000006C9C: 820D0D80
	v_mfma_i32_16x16x32_i8 v[236:239], a[140:141], v[160:161], v[236:239]// 000000006CA0: D3D700EC 0FB3418C
	v_mfma_i32_16x16x32_i8 v[236:239], a[142:143], v[162:163], v[236:239]// 000000006CA8: D3D700EC 0FB3458E
	s_waitcnt vmcnt(37)                                        // 000000006CB0: BF8C8F75
	v_mfma_i32_16x16x32_i8 v[208:211], a[144:145], v[140:141], v[208:211]// 000000006CB4: D3D700D0 0F431990
	v_mfma_i32_16x16x32_i8 v[208:211], a[146:147], v[142:143], v[208:211]// 000000006CBC: D3D700D0 0F431D92
	buffer_load_dwordx4 a[48:51], v40, s[12:15], 0 offen       // 000000006CC4: E05C1000 80833028
	v_mfma_i32_16x16x32_i8 v[212:215], a[144:145], v[164:165], v[212:215]// 000000006CCC: D3D700D4 0F534990
	v_mfma_i32_16x16x32_i8 v[212:215], a[146:147], v[166:167], v[212:215]// 000000006CD4: D3D700D4 0F534D92
	v_mfma_i32_16x16x32_i8 v[216:219], a[148:149], v[140:141], v[216:219]// 000000006CDC: D3D700D8 0F631994
	v_mfma_i32_16x16x32_i8 v[216:219], a[150:151], v[142:143], v[216:219]// 000000006CE4: D3D700D8 0F631D96
	buffer_load_dwordx4 a[52:55], v41, s[12:15], 0 offen       // 000000006CEC: E05C1000 80833429
	v_mfma_i32_16x16x32_i8 v[220:223], a[148:149], v[164:165], v[220:223]// 000000006CF4: D3D700DC 0F734994
	v_mfma_i32_16x16x32_i8 v[220:223], a[150:151], v[166:167], v[220:223]// 000000006CFC: D3D700DC 0F734D96
	v_mfma_i32_16x16x32_i8 v[224:227], a[152:153], v[140:141], v[224:227]// 000000006D04: D3D700E0 0F831998
	v_mfma_i32_16x16x32_i8 v[224:227], a[154:155], v[142:143], v[224:227]// 000000006D0C: D3D700E0 0F831D9A
	buffer_load_dwordx4 a[56:59], v42, s[12:15], 0 offen       // 000000006D14: E05C1000 8083382A
	v_mfma_i32_16x16x32_i8 v[228:231], a[152:153], v[164:165], v[228:231]// 000000006D1C: D3D700E4 0F934998
	v_mfma_i32_16x16x32_i8 v[228:231], a[154:155], v[166:167], v[228:231]// 000000006D24: D3D700E4 0F934D9A
	v_mfma_i32_16x16x32_i8 v[232:235], a[156:157], v[140:141], v[232:235]// 000000006D2C: D3D700E8 0FA3199C
	v_mfma_i32_16x16x32_i8 v[232:235], a[158:159], v[142:143], v[232:235]// 000000006D34: D3D700E8 0FA31D9E
	buffer_load_dwordx4 a[60:63], v43, s[12:15], 0 offen       // 000000006D3C: E05C1000 80833C2B
	s_add_u32 s12, s78, s12                                    // 000000006D44: 800C0C4E
	s_addc_u32 s13, 0, s13                                     // 000000006D48: 820D0D80
	v_mfma_i32_16x16x32_i8 v[236:239], a[156:157], v[164:165], v[236:239]// 000000006D4C: D3D700EC 0FB3499C
	v_mfma_i32_16x16x32_i8 v[236:239], a[158:159], v[166:167], v[236:239]// 000000006D54: D3D700EC 0FB34D9E
	s_waitcnt vmcnt(37)                                        // 000000006D5C: BF8C8F75
	v_mfma_i32_16x16x32_i8 v[208:211], a[160:161], v[144:145], v[208:211]// 000000006D60: D3D700D0 0F4321A0
	v_mfma_i32_16x16x32_i8 v[208:211], a[162:163], v[146:147], v[208:211]// 000000006D68: D3D700D0 0F4325A2
	buffer_load_dwordx4 a[64:67], v40, s[12:15], 0 offen       // 000000006D70: E05C1000 80834028
	v_mfma_i32_16x16x32_i8 v[212:215], a[160:161], v[168:169], v[212:215]// 000000006D78: D3D700D4 0F5351A0
	v_mfma_i32_16x16x32_i8 v[212:215], a[162:163], v[170:171], v[212:215]// 000000006D80: D3D700D4 0F5355A2
	v_mfma_i32_16x16x32_i8 v[216:219], a[164:165], v[144:145], v[216:219]// 000000006D88: D3D700D8 0F6321A4
	v_mfma_i32_16x16x32_i8 v[216:219], a[166:167], v[146:147], v[216:219]// 000000006D90: D3D700D8 0F6325A6
	buffer_load_dwordx4 a[68:71], v41, s[12:15], 0 offen       // 000000006D98: E05C1000 80834429
	v_mfma_i32_16x16x32_i8 v[220:223], a[164:165], v[168:169], v[220:223]// 000000006DA0: D3D700DC 0F7351A4
	v_mfma_i32_16x16x32_i8 v[220:223], a[166:167], v[170:171], v[220:223]// 000000006DA8: D3D700DC 0F7355A6
	v_mfma_i32_16x16x32_i8 v[224:227], a[168:169], v[144:145], v[224:227]// 000000006DB0: D3D700E0 0F8321A8
	v_mfma_i32_16x16x32_i8 v[224:227], a[170:171], v[146:147], v[224:227]// 000000006DB8: D3D700E0 0F8325AA
	buffer_load_dwordx4 a[72:75], v42, s[12:15], 0 offen       // 000000006DC0: E05C1000 8083482A
	v_mfma_i32_16x16x32_i8 v[228:231], a[168:169], v[168:169], v[228:231]// 000000006DC8: D3D700E4 0F9351A8
	v_mfma_i32_16x16x32_i8 v[228:231], a[170:171], v[170:171], v[228:231]// 000000006DD0: D3D700E4 0F9355AA
	v_mfma_i32_16x16x32_i8 v[232:235], a[172:173], v[144:145], v[232:235]// 000000006DD8: D3D700E8 0FA321AC
	v_mfma_i32_16x16x32_i8 v[232:235], a[174:175], v[146:147], v[232:235]// 000000006DE0: D3D700E8 0FA325AE
	buffer_load_dwordx4 a[76:79], v43, s[12:15], 0 offen       // 000000006DE8: E05C1000 80834C2B
	s_add_u32 s12, s78, s12                                    // 000000006DF0: 800C0C4E
	s_addc_u32 s13, 0, s13                                     // 000000006DF4: 820D0D80
	v_mfma_i32_16x16x32_i8 v[236:239], a[172:173], v[168:169], v[236:239]// 000000006DF8: D3D700EC 0FB351AC
	v_mfma_i32_16x16x32_i8 v[236:239], a[174:175], v[170:171], v[236:239]// 000000006E00: D3D700EC 0FB355AE
	s_waitcnt vmcnt(36)                                        // 000000006E08: BF8C8F74
	v_mfma_i32_16x16x32_i8 v[208:211], a[176:177], v[148:149], v[208:211]// 000000006E0C: D3D700D0 0F4329B0
	v_mfma_i32_16x16x32_i8 v[208:211], a[178:179], v[150:151], v[208:211]// 000000006E14: D3D700D0 0F432DB2
	buffer_load_dwordx4 a[80:83], v40, s[12:15], 0 offen       // 000000006E1C: E05C1000 80835028
	v_mfma_i32_16x16x32_i8 v[212:215], a[176:177], v[172:173], v[212:215]// 000000006E24: D3D700D4 0F5359B0
	v_mfma_i32_16x16x32_i8 v[212:215], a[178:179], v[174:175], v[212:215]// 000000006E2C: D3D700D4 0F535DB2
	buffer_load_dword v12, v5, s[16:19], 0 offen               // 000000006E34: E0501000 80040C05
	v_mfma_i32_16x16x32_i8 v[216:219], a[180:181], v[148:149], v[216:219]// 000000006E3C: D3D700D8 0F6329B4
	v_mfma_i32_16x16x32_i8 v[216:219], a[182:183], v[150:151], v[216:219]// 000000006E44: D3D700D8 0F632DB6
	buffer_load_dwordx4 a[84:87], v41, s[12:15], 0 offen       // 000000006E4C: E05C1000 80835429
	v_mfma_i32_16x16x32_i8 v[220:223], a[180:181], v[172:173], v[220:223]// 000000006E54: D3D700DC 0F7359B4
	v_mfma_i32_16x16x32_i8 v[220:223], a[182:183], v[174:175], v[220:223]// 000000006E5C: D3D700DC 0F735DB6
	v_mfma_i32_16x16x32_i8 v[224:227], a[184:185], v[148:149], v[224:227]// 000000006E64: D3D700E0 0F8329B8
	v_mfma_i32_16x16x32_i8 v[224:227], a[186:187], v[150:151], v[224:227]// 000000006E6C: D3D700E0 0F832DBA
	buffer_load_dwordx4 a[88:91], v42, s[12:15], 0 offen       // 000000006E74: E05C1000 8083582A
	v_mfma_i32_16x16x32_i8 v[228:231], a[184:185], v[172:173], v[228:231]// 000000006E7C: D3D700E4 0F9359B8
	v_mfma_i32_16x16x32_i8 v[228:231], a[186:187], v[174:175], v[228:231]// 000000006E84: D3D700E4 0F935DBA
	v_mfma_i32_16x16x32_i8 v[232:235], a[188:189], v[148:149], v[232:235]// 000000006E8C: D3D700E8 0FA329BC
	v_mfma_i32_16x16x32_i8 v[232:235], a[190:191], v[150:151], v[232:235]// 000000006E94: D3D700E8 0FA32DBE
	buffer_load_dwordx4 a[92:95], v43, s[12:15], 0 offen       // 000000006E9C: E05C1000 80835C2B
	v_mfma_i32_16x16x32_i8 v[236:239], a[188:189], v[172:173], v[236:239]// 000000006EA4: D3D700EC 0FB359BC
	v_mfma_i32_16x16x32_i8 v[236:239], a[190:191], v[174:175], v[236:239]// 000000006EAC: D3D700EC 0FB35DBE
	s_add_u32 s60, 0x200, s80                                  // 000000006EB4: 803C50FF 00000200
	s_cmp_lt_u32 s60, s81                                      // 000000006EBC: BF0A513C
	s_cselect_b32 s56, s56, 0                                  // 000000006EC0: 85388038
	s_cselect_b32 s78, s78, 0                                  // 000000006EC4: 854E804E
	s_cselect_b32 s79, s79, 0                                  // 000000006EC8: 854F804F
	s_add_u32 s12, s56, s12                                    // 000000006ECC: 800C0C38
	s_addc_u32 s13, 0, s13                                     // 000000006ED0: 820D0D80
	s_add_u32 s16, s79, s16                                    // 000000006ED4: 8010104F
	s_addc_u32 s17, 0, s17                                     // 000000006ED8: 82111180
	v_cvt_f32_i32_e32 v208, v208                               // 000000006EDC: 7FA00BD0
	v_cvt_f32_i32_e32 v209, v209                               // 000000006EE0: 7FA20BD1
	v_cvt_f32_i32_e32 v210, v210                               // 000000006EE4: 7FA40BD2
	v_cvt_f32_i32_e32 v211, v211                               // 000000006EE8: 7FA60BD3
	v_mul_f32_e32 v208, v24, v208                              // 000000006EEC: 0BA1A118
	v_mul_f32_e32 v209, v24, v209                              // 000000006EF0: 0BA3A318
	v_mul_f32_e32 v210, v24, v210                              // 000000006EF4: 0BA5A518
	v_mul_f32_e32 v211, v24, v211                              // 000000006EF8: 0BA7A718
	v_mul_f32_dpp v208, v13, v208 row_newbcast:0 row_mask:0xf bank_mask:0xf// 000000006EFC: 0BA1A0FA FF01500D
	v_mul_f32_dpp v209, v13, v209 row_newbcast:1 row_mask:0xf bank_mask:0xf// 000000006F04: 0BA3A2FA FF01510D
	v_mul_f32_dpp v210, v13, v210 row_newbcast:2 row_mask:0xf bank_mask:0xf// 000000006F0C: 0BA5A4FA FF01520D
	v_mul_f32_dpp v211, v13, v211 row_newbcast:3 row_mask:0xf bank_mask:0xf// 000000006F14: 0BA7A6FA FF01530D
	v_mul_f32_e32 v208, v20, v208                              // 000000006F1C: 0BA1A114
	v_mul_f32_e32 v209, v20, v209                              // 000000006F20: 0BA3A314
	v_mul_f32_e32 v210, v20, v210                              // 000000006F24: 0BA5A514
	v_mul_f32_e32 v211, v20, v211                              // 000000006F28: 0BA7A714
	v_cvt_f32_i32_e32 v212, v212                               // 000000006F2C: 7FA80BD4
	v_cvt_f32_i32_e32 v213, v213                               // 000000006F30: 7FAA0BD5
	v_cvt_f32_i32_e32 v214, v214                               // 000000006F34: 7FAC0BD6
	v_cvt_f32_i32_e32 v215, v215                               // 000000006F38: 7FAE0BD7
	v_mul_f32_e32 v212, v25, v212                              // 000000006F3C: 0BA9A919
	v_mul_f32_e32 v213, v25, v213                              // 000000006F40: 0BABAB19
	v_mul_f32_e32 v214, v25, v214                              // 000000006F44: 0BADAD19
	v_mul_f32_e32 v215, v25, v215                              // 000000006F48: 0BAFAF19
	v_mul_f32_dpp v212, v13, v212 row_newbcast:0 row_mask:0xf bank_mask:0xf// 000000006F4C: 0BA9A8FA FF01500D
	v_mul_f32_dpp v213, v13, v213 row_newbcast:1 row_mask:0xf bank_mask:0xf// 000000006F54: 0BABAAFA FF01510D
	v_mul_f32_dpp v214, v13, v214 row_newbcast:2 row_mask:0xf bank_mask:0xf// 000000006F5C: 0BADACFA FF01520D
	v_mul_f32_dpp v215, v13, v215 row_newbcast:3 row_mask:0xf bank_mask:0xf// 000000006F64: 0BAFAEFA FF01530D
	v_mul_f32_e32 v212, v21, v212                              // 000000006F6C: 0BA9A915
	v_mul_f32_e32 v213, v21, v213                              // 000000006F70: 0BABAB15
	v_mul_f32_e32 v214, v21, v214                              // 000000006F74: 0BADAD15
	v_mul_f32_e32 v215, v21, v215                              // 000000006F78: 0BAFAF15
	v_cvt_f32_i32_e32 v216, v216                               // 000000006F7C: 7FB00BD8
	v_cvt_f32_i32_e32 v217, v217                               // 000000006F80: 7FB20BD9
	v_cvt_f32_i32_e32 v218, v218                               // 000000006F84: 7FB40BDA
	v_cvt_f32_i32_e32 v219, v219                               // 000000006F88: 7FB60BDB
	v_mul_f32_e32 v216, v24, v216                              // 000000006F8C: 0BB1B118
	v_mul_f32_e32 v217, v24, v217                              // 000000006F90: 0BB3B318
	v_mul_f32_e32 v218, v24, v218                              // 000000006F94: 0BB5B518
	v_mul_f32_e32 v219, v24, v219                              // 000000006F98: 0BB7B718
	v_mul_f32_dpp v216, v13, v216 row_newbcast:4 row_mask:0xf bank_mask:0xf// 000000006F9C: 0BB1B0FA FF01540D
	v_mul_f32_dpp v217, v13, v217 row_newbcast:5 row_mask:0xf bank_mask:0xf// 000000006FA4: 0BB3B2FA FF01550D
	v_mul_f32_dpp v218, v13, v218 row_newbcast:6 row_mask:0xf bank_mask:0xf// 000000006FAC: 0BB5B4FA FF01560D
	v_mul_f32_dpp v219, v13, v219 row_newbcast:7 row_mask:0xf bank_mask:0xf// 000000006FB4: 0BB7B6FA FF01570D
	v_mul_f32_e32 v216, v20, v216                              // 000000006FBC: 0BB1B114
	v_mul_f32_e32 v217, v20, v217                              // 000000006FC0: 0BB3B314
	v_mul_f32_e32 v218, v20, v218                              // 000000006FC4: 0BB5B514
	v_mul_f32_e32 v219, v20, v219                              // 000000006FC8: 0BB7B714
	v_cvt_f32_i32_e32 v220, v220                               // 000000006FCC: 7FB80BDC
	v_cvt_f32_i32_e32 v221, v221                               // 000000006FD0: 7FBA0BDD
	v_cvt_f32_i32_e32 v222, v222                               // 000000006FD4: 7FBC0BDE
	v_cvt_f32_i32_e32 v223, v223                               // 000000006FD8: 7FBE0BDF
	v_mul_f32_e32 v220, v25, v220                              // 000000006FDC: 0BB9B919
	v_mul_f32_e32 v221, v25, v221                              // 000000006FE0: 0BBBBB19
	v_mul_f32_e32 v222, v25, v222                              // 000000006FE4: 0BBDBD19
	v_mul_f32_e32 v223, v25, v223                              // 000000006FE8: 0BBFBF19
	v_mul_f32_dpp v220, v13, v220 row_newbcast:4 row_mask:0xf bank_mask:0xf// 000000006FEC: 0BB9B8FA FF01540D
	v_mul_f32_dpp v221, v13, v221 row_newbcast:5 row_mask:0xf bank_mask:0xf// 000000006FF4: 0BBBBAFA FF01550D
	v_mul_f32_dpp v222, v13, v222 row_newbcast:6 row_mask:0xf bank_mask:0xf// 000000006FFC: 0BBDBCFA FF01560D
	v_mul_f32_dpp v223, v13, v223 row_newbcast:7 row_mask:0xf bank_mask:0xf// 000000007004: 0BBFBEFA FF01570D
	v_mul_f32_e32 v220, v21, v220                              // 00000000700C: 0BB9B915
	v_mul_f32_e32 v221, v21, v221                              // 000000007010: 0BBBBB15
	v_mul_f32_e32 v222, v21, v222                              // 000000007014: 0BBDBD15
	v_mul_f32_e32 v223, v21, v223                              // 000000007018: 0BBFBF15
	v_cvt_f32_i32_e32 v224, v224                               // 00000000701C: 7FC00BE0
	v_cvt_f32_i32_e32 v225, v225                               // 000000007020: 7FC20BE1
	v_cvt_f32_i32_e32 v226, v226                               // 000000007024: 7FC40BE2
	v_cvt_f32_i32_e32 v227, v227                               // 000000007028: 7FC60BE3
	v_mul_f32_e32 v224, v24, v224                              // 00000000702C: 0BC1C118
	v_mul_f32_e32 v225, v24, v225                              // 000000007030: 0BC3C318
	v_mul_f32_e32 v226, v24, v226                              // 000000007034: 0BC5C518
	v_mul_f32_e32 v227, v24, v227                              // 000000007038: 0BC7C718
	v_mul_f32_dpp v224, v13, v224 row_newbcast:8 row_mask:0xf bank_mask:0xf// 00000000703C: 0BC1C0FA FF01580D
	v_mul_f32_dpp v225, v13, v225 row_newbcast:9 row_mask:0xf bank_mask:0xf// 000000007044: 0BC3C2FA FF01590D
	v_mul_f32_dpp v226, v13, v226 row_newbcast:10 row_mask:0xf bank_mask:0xf// 00000000704C: 0BC5C4FA FF015A0D
	v_mul_f32_dpp v227, v13, v227 row_newbcast:11 row_mask:0xf bank_mask:0xf// 000000007054: 0BC7C6FA FF015B0D
	v_mul_f32_e32 v224, v20, v224                              // 00000000705C: 0BC1C114
	v_mul_f32_e32 v225, v20, v225                              // 000000007060: 0BC3C314
	v_mul_f32_e32 v226, v20, v226                              // 000000007064: 0BC5C514
	v_mul_f32_e32 v227, v20, v227                              // 000000007068: 0BC7C714
	v_cvt_f32_i32_e32 v228, v228                               // 00000000706C: 7FC80BE4
	v_cvt_f32_i32_e32 v229, v229                               // 000000007070: 7FCA0BE5
	v_cvt_f32_i32_e32 v230, v230                               // 000000007074: 7FCC0BE6
	v_cvt_f32_i32_e32 v231, v231                               // 000000007078: 7FCE0BE7
	v_mul_f32_e32 v228, v25, v228                              // 00000000707C: 0BC9C919
	v_mul_f32_e32 v229, v25, v229                              // 000000007080: 0BCBCB19
	v_mul_f32_e32 v230, v25, v230                              // 000000007084: 0BCDCD19
	v_mul_f32_e32 v231, v25, v231                              // 000000007088: 0BCFCF19
	v_mul_f32_dpp v228, v13, v228 row_newbcast:8 row_mask:0xf bank_mask:0xf// 00000000708C: 0BC9C8FA FF01580D
	v_mul_f32_dpp v229, v13, v229 row_newbcast:9 row_mask:0xf bank_mask:0xf// 000000007094: 0BCBCAFA FF01590D
	v_mul_f32_dpp v230, v13, v230 row_newbcast:10 row_mask:0xf bank_mask:0xf// 00000000709C: 0BCDCCFA FF015A0D
	v_mul_f32_dpp v231, v13, v231 row_newbcast:11 row_mask:0xf bank_mask:0xf// 0000000070A4: 0BCFCEFA FF015B0D
	v_mul_f32_e32 v228, v21, v228                              // 0000000070AC: 0BC9C915
	v_mul_f32_e32 v229, v21, v229                              // 0000000070B0: 0BCBCB15
	v_mul_f32_e32 v230, v21, v230                              // 0000000070B4: 0BCDCD15
	v_mul_f32_e32 v231, v21, v231                              // 0000000070B8: 0BCFCF15
	v_cvt_f32_i32_e32 v232, v232                               // 0000000070BC: 7FD00BE8
	v_cvt_f32_i32_e32 v233, v233                               // 0000000070C0: 7FD20BE9
	v_cvt_f32_i32_e32 v234, v234                               // 0000000070C4: 7FD40BEA
	v_cvt_f32_i32_e32 v235, v235                               // 0000000070C8: 7FD60BEB
	v_mul_f32_e32 v232, v24, v232                              // 0000000070CC: 0BD1D118
	v_mul_f32_e32 v233, v24, v233                              // 0000000070D0: 0BD3D318
	v_mul_f32_e32 v234, v24, v234                              // 0000000070D4: 0BD5D518
	v_mul_f32_e32 v235, v24, v235                              // 0000000070D8: 0BD7D718
	v_mul_f32_dpp v232, v13, v232 row_newbcast:12 row_mask:0xf bank_mask:0xf// 0000000070DC: 0BD1D0FA FF015C0D
	v_mul_f32_dpp v233, v13, v233 row_newbcast:13 row_mask:0xf bank_mask:0xf// 0000000070E4: 0BD3D2FA FF015D0D
	v_mul_f32_dpp v234, v13, v234 row_newbcast:14 row_mask:0xf bank_mask:0xf// 0000000070EC: 0BD5D4FA FF015E0D
	v_mul_f32_dpp v235, v13, v235 row_newbcast:15 row_mask:0xf bank_mask:0xf// 0000000070F4: 0BD7D6FA FF015F0D
	v_mul_f32_e32 v232, v20, v232                              // 0000000070FC: 0BD1D114
	v_mul_f32_e32 v233, v20, v233                              // 000000007100: 0BD3D314
	v_mul_f32_e32 v234, v20, v234                              // 000000007104: 0BD5D514
	v_mul_f32_e32 v235, v20, v235                              // 000000007108: 0BD7D714
	v_cvt_f32_i32_e32 v236, v236                               // 00000000710C: 7FD80BEC
	v_cvt_f32_i32_e32 v237, v237                               // 000000007110: 7FDA0BED
	v_cvt_f32_i32_e32 v238, v238                               // 000000007114: 7FDC0BEE
	v_cvt_f32_i32_e32 v239, v239                               // 000000007118: 7FDE0BEF
	v_mul_f32_e32 v236, v25, v236                              // 00000000711C: 0BD9D919
	v_mul_f32_e32 v237, v25, v237                              // 000000007120: 0BDBDB19
	v_mul_f32_e32 v238, v25, v238                              // 000000007124: 0BDDDD19
	v_mul_f32_e32 v239, v25, v239                              // 000000007128: 0BDFDF19
	v_mul_f32_dpp v236, v13, v236 row_newbcast:12 row_mask:0xf bank_mask:0xf// 00000000712C: 0BD9D8FA FF015C0D
	v_mul_f32_dpp v237, v13, v237 row_newbcast:13 row_mask:0xf bank_mask:0xf// 000000007134: 0BDBDAFA FF015D0D
	v_mul_f32_dpp v238, v13, v238 row_newbcast:14 row_mask:0xf bank_mask:0xf// 00000000713C: 0BDDDCFA FF015E0D
	v_mul_f32_dpp v239, v13, v239 row_newbcast:15 row_mask:0xf bank_mask:0xf// 000000007144: 0BDFDEFA FF015F0D
	v_mul_f32_e32 v236, v21, v236                              // 00000000714C: 0BD9D915
	v_mul_f32_e32 v237, v21, v237                              // 000000007150: 0BDBDB15
	v_mul_f32_e32 v238, v21, v238                              // 000000007154: 0BDDDD15
	v_mul_f32_e32 v239, v21, v239                              // 000000007158: 0BDFDF15
	v_cvt_pkrtz_f16_f32 v208, v208, v209                       // 00000000715C: D29600D0 0003A3D0
	v_cvt_pkrtz_f16_f32 v209, v210, v211                       // 000000007164: D29600D1 0003A7D2
	v_cvt_pkrtz_f16_f32 v210, v212, v213                       // 00000000716C: D29600D2 0003ABD4
	v_cvt_pkrtz_f16_f32 v211, v214, v215                       // 000000007174: D29600D3 0003AFD6
	v_cvt_pkrtz_f16_f32 v212, v216, v217                       // 00000000717C: D29600D4 0003B3D8
	v_cvt_pkrtz_f16_f32 v213, v218, v219                       // 000000007184: D29600D5 0003B7DA
	v_cvt_pkrtz_f16_f32 v214, v220, v221                       // 00000000718C: D29600D6 0003BBDC
	v_cvt_pkrtz_f16_f32 v215, v222, v223                       // 000000007194: D29600D7 0003BFDE
	v_cvt_pkrtz_f16_f32 v216, v224, v225                       // 00000000719C: D29600D8 0003C3E0
	v_cvt_pkrtz_f16_f32 v217, v226, v227                       // 0000000071A4: D29600D9 0003C7E2
	v_cvt_pkrtz_f16_f32 v218, v228, v229                       // 0000000071AC: D29600DA 0003CBE4
	v_cvt_pkrtz_f16_f32 v219, v230, v231                       // 0000000071B4: D29600DB 0003CFE6
	v_cvt_pkrtz_f16_f32 v220, v232, v233                       // 0000000071BC: D29600DC 0003D3E8
	v_cvt_pkrtz_f16_f32 v221, v234, v235                       // 0000000071C4: D29600DD 0003D7EA
	v_cvt_pkrtz_f16_f32 v222, v236, v237                       // 0000000071CC: D29600DE 0003DBEC
	v_cvt_pkrtz_f16_f32 v223, v238, v239                       // 0000000071D4: D29600DF 0003DFEE
	ds_write_b64 v3, v[208:209] offset:30976                   // 0000000071DC: D89A7900 0000D003
	ds_write_b64 v3, v[210:211] offset:39680                   // 0000000071E4: D89A9B00 0000D203
	ds_write_b64 v3, v[212:213] offset:33152                   // 0000000071EC: D89A8180 0000D403
	ds_write_b64 v3, v[214:215] offset:41856                   // 0000000071F4: D89AA380 0000D603
	ds_write_b64 v3, v[216:217] offset:35328                   // 0000000071FC: D89A8A00 0000D803
	ds_write_b64 v3, v[218:219] offset:44032                   // 000000007204: D89AAC00 0000DA03
	ds_write_b64 v3, v[220:221] offset:37504                   // 00000000720C: D89A9280 0000DC03
	ds_write_b64 v3, v[222:223] offset:46208                   // 000000007214: D89AB480 0000DE03
	s_waitcnt lgkmcnt(0)                                       // 00000000721C: BF8CC07F
	s_barrier                                                  // 000000007220: BF8A0000
	ds_read_b32 v64, v4 offset:30976                           // 000000007224: D86C7900 40000004
	ds_read_b32 v65, v4 offset:35328                           // 00000000722C: D86C8A00 41000004
	ds_read_b32 v66, v4 offset:31008                           // 000000007234: D86C7920 42000004
	ds_read_b32 v67, v4 offset:35360                           // 00000000723C: D86C8A20 43000004
	ds_read_b32 v68, v4 offset:31040                           // 000000007244: D86C7940 44000004
	ds_read_b32 v69, v4 offset:35392                           // 00000000724C: D86C8A40 45000004
	ds_read_b32 v70, v4 offset:31072                           // 000000007254: D86C7960 46000004
	ds_read_b32 v71, v4 offset:35424                           // 00000000725C: D86C8A60 47000004
	ds_read_b32 v72, v4 offset:39680                           // 000000007264: D86C9B00 48000004
	ds_read_b32 v73, v4 offset:44032                           // 00000000726C: D86CAC00 49000004
	ds_read_b32 v74, v4 offset:39712                           // 000000007274: D86C9B20 4A000004
	ds_read_b32 v75, v4 offset:44064                           // 00000000727C: D86CAC20 4B000004
	ds_read_b32 v76, v4 offset:39744                           // 000000007284: D86C9B40 4C000004
	ds_read_b32 v77, v4 offset:44096                           // 00000000728C: D86CAC40 4D000004
	ds_read_b32 v78, v4 offset:39776                           // 000000007294: D86C9B60 4E000004
	ds_read_b32 v79, v4 offset:44128                           // 00000000729C: D86CAC60 4F000004
	s_waitcnt lgkmcnt(0)                                       // 0000000072A4: BF8CC07F
	s_mov_b64 exec, s[20:21]                                   // 0000000072A8: BEFE0114
	global_atomic_pk_add_f16 v80, v64, s[8:9]                  // 0000000072AC: DD388000 00084050
	s_mov_b64 exec, s[36:37]                                   // 0000000072B4: BEFE0124
	s_mov_b64 exec, s[20:21]                                   // 0000000072B8: BEFE0114
	global_atomic_pk_add_f16 v80, v65, s[8:9] offset:256       // 0000000072BC: DD388100 00084150
	s_mov_b64 exec, s[36:37]                                   // 0000000072C4: BEFE0124
	s_mov_b64 exec, s[22:23]                                   // 0000000072C8: BEFE0116
	global_atomic_pk_add_f16 v82, v66, s[8:9]                  // 0000000072CC: DD388000 00084252
	s_mov_b64 exec, s[36:37]                                   // 0000000072D4: BEFE0124
	s_mov_b64 exec, s[22:23]                                   // 0000000072D8: BEFE0116
	global_atomic_pk_add_f16 v82, v67, s[8:9] offset:256       // 0000000072DC: DD388100 00084352
	s_mov_b64 exec, s[36:37]                                   // 0000000072E4: BEFE0124
	s_mov_b64 exec, s[24:25]                                   // 0000000072E8: BEFE0118
	global_atomic_pk_add_f16 v84, v68, s[8:9]                  // 0000000072EC: DD388000 00084454
	s_mov_b64 exec, s[36:37]                                   // 0000000072F4: BEFE0124
	s_mov_b64 exec, s[24:25]                                   // 0000000072F8: BEFE0118
	global_atomic_pk_add_f16 v84, v69, s[8:9] offset:256       // 0000000072FC: DD388100 00084554
	s_mov_b64 exec, s[36:37]                                   // 000000007304: BEFE0124
	s_mov_b64 exec, s[26:27]                                   // 000000007308: BEFE011A
	global_atomic_pk_add_f16 v86, v70, s[8:9]                  // 00000000730C: DD388000 00084656
	s_mov_b64 exec, s[36:37]                                   // 000000007314: BEFE0124
	s_mov_b64 exec, s[26:27]                                   // 000000007318: BEFE011A
	global_atomic_pk_add_f16 v86, v71, s[8:9] offset:256       // 00000000731C: DD388100 00084756
	s_mov_b64 exec, s[36:37]                                   // 000000007324: BEFE0124
	s_mov_b64 exec, s[28:29]                                   // 000000007328: BEFE011C
	global_atomic_pk_add_f16 v88, v72, s[8:9]                  // 00000000732C: DD388000 00084858
	s_mov_b64 exec, s[36:37]                                   // 000000007334: BEFE0124
	s_mov_b64 exec, s[28:29]                                   // 000000007338: BEFE011C
	global_atomic_pk_add_f16 v88, v73, s[8:9] offset:256       // 00000000733C: DD388100 00084958
	s_mov_b64 exec, s[36:37]                                   // 000000007344: BEFE0124
	s_mov_b64 exec, s[30:31]                                   // 000000007348: BEFE011E
	global_atomic_pk_add_f16 v90, v74, s[8:9]                  // 00000000734C: DD388000 00084A5A
	s_mov_b64 exec, s[36:37]                                   // 000000007354: BEFE0124
	s_mov_b64 exec, s[30:31]                                   // 000000007358: BEFE011E
	global_atomic_pk_add_f16 v90, v75, s[8:9] offset:256       // 00000000735C: DD388100 00084B5A
	s_mov_b64 exec, s[36:37]                                   // 000000007364: BEFE0124
	s_mov_b64 exec, s[32:33]                                   // 000000007368: BEFE0120
	global_atomic_pk_add_f16 v92, v76, s[8:9]                  // 00000000736C: DD388000 00084C5C
	s_mov_b64 exec, s[36:37]                                   // 000000007374: BEFE0124
	s_mov_b64 exec, s[32:33]                                   // 000000007378: BEFE0120
	global_atomic_pk_add_f16 v92, v77, s[8:9] offset:256       // 00000000737C: DD388100 00084D5C
	s_mov_b64 exec, s[36:37]                                   // 000000007384: BEFE0124
	s_mov_b64 exec, s[34:35]                                   // 000000007388: BEFE0122
	global_atomic_pk_add_f16 v94, v78, s[8:9]                  // 00000000738C: DD388000 00084E5E
	s_mov_b64 exec, s[36:37]                                   // 000000007394: BEFE0124
	s_mov_b64 exec, s[34:35]                                   // 000000007398: BEFE0122
	global_atomic_pk_add_f16 v94, v79, s[8:9] offset:256       // 00000000739C: DD388100 00084F5E
	s_mov_b64 exec, s[36:37]                                   // 0000000073A4: BEFE0124
	s_add_u32 s8, s59, s8                                      // 0000000073A8: 8008083B
	s_addc_u32 s9, 0, s9                                       // 0000000073AC: 82090980
	s_addk_i32 s80, 0x100                                      // 0000000073B0: B7500100
	s_cmp_lt_i32 s80, s81                                      // 0000000073B4: BF045150
	s_cbranch_scc0 label_1170                                  // 0000000073B8: BF840001
	s_branch label_0CE5                                        // 0000000073BC: BF82FB75

00000000000073c0 <label_1170>:
	s_nop 0                                                    // 0000000073C0: BF800000
	s_nop 0                                                    // 0000000073C4: BF800000
	s_branch label_201F                                        // 0000000073C8: BF820EAC

00000000000073cc <label_1173>:
	s_waitcnt vmcnt(16) lgkmcnt(0)                             // 0000000073CC: BF8C4070
	s_barrier                                                  // 0000000073D0: BF8A0000
	v_mfma_i32_16x16x32_i8 v[128:131], a[0:1], v[176:177], v[128:131]// 0000000073D4: D3D70080 0E036100
	buffer_load_dwordx4 a[96:99], v34, s[92:95], 0 offen       // 0000000073DC: E05C1000 80976022
	v_mfma_i32_16x16x32_i8 v[128:131], a[2:3], v[178:179], v[128:131]// 0000000073E4: D3D70080 0E036502
	v_mfma_i32_16x16x32_i8 v[128:131], a[4:5], v[180:181], v[128:131]// 0000000073EC: D3D70080 0E036904
	buffer_load_dword v26, s[20:23], 0 offen lds               // 0000000073F4: E0511000 8005001A
	s_add_u32 m0, 0x100, s51                                   // 0000000073FC: 807C33FF 00000100
	v_mfma_i32_16x16x32_i8 v[128:131], a[6:7], v[182:183], v[128:131]// 000000007404: D3D70080 0E036D06
	v_mfma_i32_16x16x32_i8 v[128:131], a[8:9], v[184:185], v[128:131]// 00000000740C: D3D70080 0E037108
	buffer_load_dwordx4 a[100:103], v34, s[92:95], 0 offen offset:1024// 000000007414: E05C1400 80976422
	v_mfma_i32_16x16x32_i8 v[128:131], a[10:11], v[186:187], v[128:131]// 00000000741C: D3D70080 0E03750A
	v_mfma_i32_16x16x32_i8 v[128:131], a[12:13], v[188:189], v[128:131]// 000000007424: D3D70080 0E03790C
	buffer_load_dword v27, s[20:23], 0 offen lds               // 00000000742C: E0511000 8005001B
	s_add_u32 m0, 0x200, s51                                   // 000000007434: 807C33FF 00000200
	v_mfma_i32_16x16x32_i8 v[128:131], a[14:15], v[190:191], v[128:131]// 00000000743C: D3D70080 0E037D0E
	v_mfma_i32_16x16x32_i8 v[132:135], a[0:1], v[192:193], v[132:135]// 000000007444: D3D70084 0E138100
	buffer_load_dwordx4 a[104:107], v34, s[92:95], 0 offen offset:2048// 00000000744C: E05C1800 80976822
	v_mfma_i32_16x16x32_i8 v[132:135], a[2:3], v[194:195], v[132:135]// 000000007454: D3D70084 0E138502
	v_mfma_i32_16x16x32_i8 v[132:135], a[4:5], v[196:197], v[132:135]// 00000000745C: D3D70084 0E138904
	buffer_load_dword v28, s[20:23], 0 offen lds               // 000000007464: E0511000 8005001C
	s_add_u32 m0, 0x300, s51                                   // 00000000746C: 807C33FF 00000300
	v_mfma_i32_16x16x32_i8 v[132:135], a[6:7], v[198:199], v[132:135]// 000000007474: D3D70084 0E138D06
	v_mfma_i32_16x16x32_i8 v[132:135], a[8:9], v[200:201], v[132:135]// 00000000747C: D3D70084 0E139108
	buffer_load_dwordx4 a[108:111], v34, s[92:95], 0 offen offset:3072// 000000007484: E05C1C00 80976C22
	v_mfma_i32_16x16x32_i8 v[132:135], a[10:11], v[202:203], v[132:135]// 00000000748C: D3D70084 0E13950A
	v_mfma_i32_16x16x32_i8 v[132:135], a[12:13], v[204:205], v[132:135]// 000000007494: D3D70084 0E13990C
	buffer_load_dword v29, s[20:23], 0 offen lds               // 00000000749C: E0511000 8005001D
	s_add_u32 m0, 0x400, s51                                   // 0000000074A4: 807C33FF 00000400
	v_mfma_i32_16x16x32_i8 v[132:135], a[14:15], v[206:207], v[132:135]// 0000000074AC: D3D70084 0E139D0E
	v_mfma_i32_16x16x32_i8 v[136:139], a[16:17], v[176:177], v[136:139]// 0000000074B4: D3D70088 0E236110
	buffer_load_dwordx4 a[112:115], v35, s[92:95], 0 offen     // 0000000074BC: E05C1000 80977023
	v_mfma_i32_16x16x32_i8 v[136:139], a[18:19], v[178:179], v[136:139]// 0000000074C4: D3D70088 0E236512
	v_mfma_i32_16x16x32_i8 v[136:139], a[20:21], v[180:181], v[136:139]// 0000000074CC: D3D70088 0E236914
	buffer_load_dword v30, s[20:23], 0 offen lds               // 0000000074D4: E0511000 8005001E
	s_add_u32 m0, 0x500, s51                                   // 0000000074DC: 807C33FF 00000500
	v_mfma_i32_16x16x32_i8 v[136:139], a[22:23], v[182:183], v[136:139]// 0000000074E4: D3D70088 0E236D16
	v_mfma_i32_16x16x32_i8 v[136:139], a[24:25], v[184:185], v[136:139]// 0000000074EC: D3D70088 0E237118
	buffer_load_dwordx4 a[116:119], v35, s[92:95], 0 offen offset:1024// 0000000074F4: E05C1400 80977423
	v_mfma_i32_16x16x32_i8 v[136:139], a[26:27], v[186:187], v[136:139]// 0000000074FC: D3D70088 0E23751A
	v_mfma_i32_16x16x32_i8 v[136:139], a[28:29], v[188:189], v[136:139]// 000000007504: D3D70088 0E23791C
	buffer_load_dword v31, s[20:23], 0 offen lds               // 00000000750C: E0511000 8005001F
	s_add_u32 m0, 0x600, s51                                   // 000000007514: 807C33FF 00000600
	v_mfma_i32_16x16x32_i8 v[136:139], a[30:31], v[190:191], v[136:139]// 00000000751C: D3D70088 0E237D1E
	v_mfma_i32_16x16x32_i8 v[140:143], a[16:17], v[192:193], v[140:143]// 000000007524: D3D7008C 0E338110
	buffer_load_dwordx4 a[120:123], v35, s[92:95], 0 offen offset:2048// 00000000752C: E05C1800 80977823
	v_mfma_i32_16x16x32_i8 v[140:143], a[18:19], v[194:195], v[140:143]// 000000007534: D3D7008C 0E338512
	v_mfma_i32_16x16x32_i8 v[140:143], a[20:21], v[196:197], v[140:143]// 00000000753C: D3D7008C 0E338914
	buffer_load_dword v32, s[20:23], 0 offen lds               // 000000007544: E0511000 80050020
	s_add_u32 m0, 0x700, s51                                   // 00000000754C: 807C33FF 00000700
	v_mfma_i32_16x16x32_i8 v[140:143], a[22:23], v[198:199], v[140:143]// 000000007554: D3D7008C 0E338D16
	v_mfma_i32_16x16x32_i8 v[140:143], a[24:25], v[200:201], v[140:143]// 00000000755C: D3D7008C 0E339118
	buffer_load_dwordx4 a[124:127], v35, s[92:95], 0 offen offset:3072// 000000007564: E05C1C00 80977C23
	v_mfma_i32_16x16x32_i8 v[140:143], a[26:27], v[202:203], v[140:143]// 00000000756C: D3D7008C 0E33951A
	v_mfma_i32_16x16x32_i8 v[140:143], a[28:29], v[204:205], v[140:143]// 000000007574: D3D7008C 0E33991C
	buffer_load_dword v33, s[20:23], 0 offen lds               // 00000000757C: E0511000 80050021
	s_add_u32 m0, 0, s50                                       // 000000007584: 807C3280
	v_mfma_i32_16x16x32_i8 v[140:143], a[30:31], v[206:207], v[140:143]// 000000007588: D3D7008C 0E339D1E
	s_waitcnt vmcnt(28)                                        // 000000007590: BF8C4F7C
	v_mfma_i32_16x16x32_i8 v[144:147], a[32:33], v[176:177], v[144:147]// 000000007594: D3D70090 0E436120
	buffer_load_dwordx4 a[128:131], v36, s[92:95], 0 offen     // 00000000759C: E05C1000 80978024
	v_mfma_i32_16x16x32_i8 v[144:147], a[34:35], v[178:179], v[144:147]// 0000000075A4: D3D70090 0E436522
	v_mfma_i32_16x16x32_i8 v[144:147], a[36:37], v[180:181], v[144:147]// 0000000075AC: D3D70090 0E436924
	v_mfma_i32_16x16x32_i8 v[144:147], a[38:39], v[182:183], v[144:147]// 0000000075B4: D3D70090 0E436D26
	v_mfma_i32_16x16x32_i8 v[144:147], a[40:41], v[184:185], v[144:147]// 0000000075BC: D3D70090 0E437128
	buffer_load_dwordx4 a[132:135], v36, s[92:95], 0 offen offset:1024// 0000000075C4: E05C1400 80978424
	v_mfma_i32_16x16x32_i8 v[144:147], a[42:43], v[186:187], v[144:147]// 0000000075CC: D3D70090 0E43752A
	v_mfma_i32_16x16x32_i8 v[144:147], a[44:45], v[188:189], v[144:147]// 0000000075D4: D3D70090 0E43792C
	v_mfma_i32_16x16x32_i8 v[144:147], a[46:47], v[190:191], v[144:147]// 0000000075DC: D3D70090 0E437D2E
	v_mfma_i32_16x16x32_i8 v[148:151], a[32:33], v[192:193], v[148:151]// 0000000075E4: D3D70094 0E538120
	buffer_load_dwordx4 a[136:139], v36, s[92:95], 0 offen offset:2048// 0000000075EC: E05C1800 80978824
	v_mfma_i32_16x16x32_i8 v[148:151], a[34:35], v[194:195], v[148:151]// 0000000075F4: D3D70094 0E538522
	v_mfma_i32_16x16x32_i8 v[148:151], a[36:37], v[196:197], v[148:151]// 0000000075FC: D3D70094 0E538924
	v_mfma_i32_16x16x32_i8 v[148:151], a[38:39], v[198:199], v[148:151]// 000000007604: D3D70094 0E538D26
	v_mfma_i32_16x16x32_i8 v[148:151], a[40:41], v[200:201], v[148:151]// 00000000760C: D3D70094 0E539128
	buffer_load_dwordx4 a[140:143], v36, s[92:95], 0 offen offset:3072// 000000007614: E05C1C00 80978C24
	v_mfma_i32_16x16x32_i8 v[148:151], a[42:43], v[202:203], v[148:151]// 00000000761C: D3D70094 0E53952A
	v_mfma_i32_16x16x32_i8 v[148:151], a[44:45], v[204:205], v[148:151]// 000000007624: D3D70094 0E53992C
	v_mfma_i32_16x16x32_i8 v[148:151], a[46:47], v[206:207], v[148:151]// 00000000762C: D3D70094 0E539D2E
	s_waitcnt vmcnt(28)                                        // 000000007634: BF8C4F7C
	v_mfma_i32_16x16x32_i8 v[152:155], a[48:49], v[176:177], v[152:155]// 000000007638: D3D70098 0E636130
	buffer_load_dwordx4 a[144:147], v37, s[92:95], 0 offen     // 000000007640: E05C1000 80979025
	v_mfma_i32_16x16x32_i8 v[152:155], a[50:51], v[178:179], v[152:155]// 000000007648: D3D70098 0E636532
	v_mfma_i32_16x16x32_i8 v[152:155], a[52:53], v[180:181], v[152:155]// 000000007650: D3D70098 0E636934
	v_mfma_i32_16x16x32_i8 v[152:155], a[54:55], v[182:183], v[152:155]// 000000007658: D3D70098 0E636D36
	v_mfma_i32_16x16x32_i8 v[152:155], a[56:57], v[184:185], v[152:155]// 000000007660: D3D70098 0E637138
	buffer_load_dwordx4 a[148:151], v37, s[92:95], 0 offen offset:1024// 000000007668: E05C1400 80979425
	v_mfma_i32_16x16x32_i8 v[152:155], a[58:59], v[186:187], v[152:155]// 000000007670: D3D70098 0E63753A
	v_mfma_i32_16x16x32_i8 v[152:155], a[60:61], v[188:189], v[152:155]// 000000007678: D3D70098 0E63793C
	v_mfma_i32_16x16x32_i8 v[152:155], a[62:63], v[190:191], v[152:155]// 000000007680: D3D70098 0E637D3E
	v_mfma_i32_16x16x32_i8 v[156:159], a[48:49], v[192:193], v[156:159]// 000000007688: D3D7009C 0E738130
	buffer_load_dwordx4 a[152:155], v37, s[92:95], 0 offen offset:2048// 000000007690: E05C1800 80979825
	v_mfma_i32_16x16x32_i8 v[156:159], a[50:51], v[194:195], v[156:159]// 000000007698: D3D7009C 0E738532
	v_mfma_i32_16x16x32_i8 v[156:159], a[52:53], v[196:197], v[156:159]// 0000000076A0: D3D7009C 0E738934
	v_mfma_i32_16x16x32_i8 v[156:159], a[54:55], v[198:199], v[156:159]// 0000000076A8: D3D7009C 0E738D36
	v_mfma_i32_16x16x32_i8 v[156:159], a[56:57], v[200:201], v[156:159]// 0000000076B0: D3D7009C 0E739138
	buffer_load_dwordx4 a[156:159], v37, s[92:95], 0 offen offset:3072// 0000000076B8: E05C1C00 80979C25
	v_mfma_i32_16x16x32_i8 v[156:159], a[58:59], v[202:203], v[156:159]// 0000000076C0: D3D7009C 0E73953A
	v_mfma_i32_16x16x32_i8 v[156:159], a[60:61], v[204:205], v[156:159]// 0000000076C8: D3D7009C 0E73993C
	v_mfma_i32_16x16x32_i8 v[156:159], a[62:63], v[206:207], v[156:159]// 0000000076D0: D3D7009C 0E739D3E
	s_waitcnt vmcnt(28)                                        // 0000000076D8: BF8C4F7C
	v_mfma_i32_16x16x32_i8 v[160:163], a[64:65], v[176:177], v[160:163]// 0000000076DC: D3D700A0 0E836140
	buffer_load_dwordx4 a[160:163], v38, s[92:95], 0 offen     // 0000000076E4: E05C1000 8097A026
	v_mfma_i32_16x16x32_i8 v[160:163], a[66:67], v[178:179], v[160:163]// 0000000076EC: D3D700A0 0E836542
	v_mfma_i32_16x16x32_i8 v[160:163], a[68:69], v[180:181], v[160:163]// 0000000076F4: D3D700A0 0E836944
	v_mfma_i32_16x16x32_i8 v[160:163], a[70:71], v[182:183], v[160:163]// 0000000076FC: D3D700A0 0E836D46
	v_mfma_i32_16x16x32_i8 v[160:163], a[72:73], v[184:185], v[160:163]// 000000007704: D3D700A0 0E837148
	buffer_load_dwordx4 a[164:167], v38, s[92:95], 0 offen offset:1024// 00000000770C: E05C1400 8097A426
	v_mfma_i32_16x16x32_i8 v[160:163], a[74:75], v[186:187], v[160:163]// 000000007714: D3D700A0 0E83754A
	v_mfma_i32_16x16x32_i8 v[160:163], a[76:77], v[188:189], v[160:163]// 00000000771C: D3D700A0 0E83794C
	v_mfma_i32_16x16x32_i8 v[160:163], a[78:79], v[190:191], v[160:163]// 000000007724: D3D700A0 0E837D4E
	v_mfma_i32_16x16x32_i8 v[164:167], a[64:65], v[192:193], v[164:167]// 00000000772C: D3D700A4 0E938140
	buffer_load_dwordx4 a[168:171], v38, s[92:95], 0 offen offset:2048// 000000007734: E05C1800 8097A826
	v_mfma_i32_16x16x32_i8 v[164:167], a[66:67], v[194:195], v[164:167]// 00000000773C: D3D700A4 0E938542
	v_mfma_i32_16x16x32_i8 v[164:167], a[68:69], v[196:197], v[164:167]// 000000007744: D3D700A4 0E938944
	v_mfma_i32_16x16x32_i8 v[164:167], a[70:71], v[198:199], v[164:167]// 00000000774C: D3D700A4 0E938D46
	v_mfma_i32_16x16x32_i8 v[164:167], a[72:73], v[200:201], v[164:167]// 000000007754: D3D700A4 0E939148
	buffer_load_dwordx4 a[172:175], v38, s[92:95], 0 offen offset:3072// 00000000775C: E05C1C00 8097AC26
	v_mfma_i32_16x16x32_i8 v[164:167], a[74:75], v[202:203], v[164:167]// 000000007764: D3D700A4 0E93954A
	v_mfma_i32_16x16x32_i8 v[164:167], a[76:77], v[204:205], v[164:167]// 00000000776C: D3D700A4 0E93994C
	v_mfma_i32_16x16x32_i8 v[164:167], a[78:79], v[206:207], v[164:167]// 000000007774: D3D700A4 0E939D4E
	s_waitcnt vmcnt(28)                                        // 00000000777C: BF8C4F7C
	v_mfma_i32_16x16x32_i8 v[168:171], a[80:81], v[176:177], v[168:171]// 000000007780: D3D700A8 0EA36150
	buffer_load_dwordx4 a[176:179], v39, s[92:95], 0 offen     // 000000007788: E05C1000 8097B027
	v_mfma_i32_16x16x32_i8 v[168:171], a[82:83], v[178:179], v[168:171]// 000000007790: D3D700A8 0EA36552
	v_mfma_i32_16x16x32_i8 v[168:171], a[84:85], v[180:181], v[168:171]// 000000007798: D3D700A8 0EA36954
	v_mfma_i32_16x16x32_i8 v[168:171], a[86:87], v[182:183], v[168:171]// 0000000077A0: D3D700A8 0EA36D56
	v_mfma_i32_16x16x32_i8 v[168:171], a[88:89], v[184:185], v[168:171]// 0000000077A8: D3D700A8 0EA37158
	buffer_load_dwordx4 a[180:183], v39, s[92:95], 0 offen offset:1024// 0000000077B0: E05C1400 8097B427
	v_mfma_i32_16x16x32_i8 v[168:171], a[90:91], v[186:187], v[168:171]// 0000000077B8: D3D700A8 0EA3755A
	v_mfma_i32_16x16x32_i8 v[168:171], a[92:93], v[188:189], v[168:171]// 0000000077C0: D3D700A8 0EA3795C
	v_mfma_i32_16x16x32_i8 v[168:171], a[94:95], v[190:191], v[168:171]// 0000000077C8: D3D700A8 0EA37D5E
	v_mfma_i32_16x16x32_i8 v[172:175], a[80:81], v[192:193], v[172:175]// 0000000077D0: D3D700AC 0EB38150
	buffer_load_dwordx4 a[184:187], v39, s[92:95], 0 offen offset:2048// 0000000077D8: E05C1800 8097B827
	v_mfma_i32_16x16x32_i8 v[172:175], a[82:83], v[194:195], v[172:175]// 0000000077E0: D3D700AC 0EB38552
	v_mfma_i32_16x16x32_i8 v[172:175], a[84:85], v[196:197], v[172:175]// 0000000077E8: D3D700AC 0EB38954
	v_mfma_i32_16x16x32_i8 v[172:175], a[86:87], v[198:199], v[172:175]// 0000000077F0: D3D700AC 0EB38D56
	v_mfma_i32_16x16x32_i8 v[172:175], a[88:89], v[200:201], v[172:175]// 0000000077F8: D3D700AC 0EB39158
	buffer_load_dwordx4 a[188:191], v39, s[92:95], 0 offen offset:3072// 000000007800: E05C1C00 8097BC27
	v_mfma_i32_16x16x32_i8 v[172:175], a[90:91], v[202:203], v[172:175]// 000000007808: D3D700AC 0EB3955A
	v_mfma_i32_16x16x32_i8 v[172:175], a[92:93], v[204:205], v[172:175]// 000000007810: D3D700AC 0EB3995C
	v_mfma_i32_16x16x32_i8 v[172:175], a[94:95], v[206:207], v[172:175]// 000000007818: D3D700AC 0EB39D5E
	s_waitcnt vmcnt(16)                                        // 000000007820: BF8C4F70
	s_barrier                                                  // 000000007824: BF8A0000
	v_mfma_i32_16x16x32_i8 v[64:67], a[96:97], v[176:177], v[64:67]// 000000007828: D3D70040 0D036160
	buffer_load_dwordx4 a[0:3], v34, s[24:27], 0 offen         // 000000007830: E05C1000 80860022
	v_mfma_i32_16x16x32_i8 v[64:67], a[98:99], v[178:179], v[64:67]// 000000007838: D3D70040 0D036562
	v_mfma_i32_16x16x32_i8 v[64:67], a[100:101], v[180:181], v[64:67]// 000000007840: D3D70040 0D036964
	v_mfma_i32_16x16x32_i8 v[64:67], a[102:103], v[182:183], v[64:67]// 000000007848: D3D70040 0D036D66
	v_mfma_i32_16x16x32_i8 v[64:67], a[104:105], v[184:185], v[64:67]// 000000007850: D3D70040 0D037168
	buffer_load_dwordx4 a[4:7], v34, s[24:27], 0 offen offset:1024// 000000007858: E05C1400 80860422
	v_mfma_i32_16x16x32_i8 v[64:67], a[106:107], v[186:187], v[64:67]// 000000007860: D3D70040 0D03756A
	v_mfma_i32_16x16x32_i8 v[64:67], a[108:109], v[188:189], v[64:67]// 000000007868: D3D70040 0D03796C
	v_mfma_i32_16x16x32_i8 v[64:67], a[110:111], v[190:191], v[64:67]// 000000007870: D3D70040 0D037D6E
	v_mfma_i32_16x16x32_i8 v[68:71], a[96:97], v[192:193], v[68:71]// 000000007878: D3D70044 0D138160
	buffer_load_dwordx4 a[8:11], v34, s[24:27], 0 offen offset:2048// 000000007880: E05C1800 80860822
	v_mfma_i32_16x16x32_i8 v[68:71], a[98:99], v[194:195], v[68:71]// 000000007888: D3D70044 0D138562
	v_mfma_i32_16x16x32_i8 v[68:71], a[100:101], v[196:197], v[68:71]// 000000007890: D3D70044 0D138964
	v_mfma_i32_16x16x32_i8 v[68:71], a[102:103], v[198:199], v[68:71]// 000000007898: D3D70044 0D138D66
	v_mfma_i32_16x16x32_i8 v[68:71], a[104:105], v[200:201], v[68:71]// 0000000078A0: D3D70044 0D139168
	buffer_load_dwordx4 a[12:15], v34, s[24:27], 0 offen offset:3072// 0000000078A8: E05C1C00 80860C22
	v_mfma_i32_16x16x32_i8 v[68:71], a[106:107], v[202:203], v[68:71]// 0000000078B0: D3D70044 0D13956A
	v_mfma_i32_16x16x32_i8 v[68:71], a[108:109], v[204:205], v[68:71]// 0000000078B8: D3D70044 0D13996C
	v_mfma_i32_16x16x32_i8 v[68:71], a[110:111], v[206:207], v[68:71]// 0000000078C0: D3D70044 0D139D6E
	v_mfma_i32_16x16x32_i8 v[72:75], a[112:113], v[176:177], v[72:75]// 0000000078C8: D3D70048 0D236170
	buffer_load_dwordx4 a[16:19], v35, s[24:27], 0 offen       // 0000000078D0: E05C1000 80861023
	v_mfma_i32_16x16x32_i8 v[72:75], a[114:115], v[178:179], v[72:75]// 0000000078D8: D3D70048 0D236572
	v_mfma_i32_16x16x32_i8 v[72:75], a[116:117], v[180:181], v[72:75]// 0000000078E0: D3D70048 0D236974
	v_mfma_i32_16x16x32_i8 v[72:75], a[118:119], v[182:183], v[72:75]// 0000000078E8: D3D70048 0D236D76
	v_mfma_i32_16x16x32_i8 v[72:75], a[120:121], v[184:185], v[72:75]// 0000000078F0: D3D70048 0D237178
	buffer_load_dwordx4 a[20:23], v35, s[24:27], 0 offen offset:1024// 0000000078F8: E05C1400 80861423
	v_mfma_i32_16x16x32_i8 v[72:75], a[122:123], v[186:187], v[72:75]// 000000007900: D3D70048 0D23757A
	v_mfma_i32_16x16x32_i8 v[72:75], a[124:125], v[188:189], v[72:75]// 000000007908: D3D70048 0D23797C
	v_mfma_i32_16x16x32_i8 v[72:75], a[126:127], v[190:191], v[72:75]// 000000007910: D3D70048 0D237D7E
	v_mfma_i32_16x16x32_i8 v[76:79], a[112:113], v[192:193], v[76:79]// 000000007918: D3D7004C 0D338170
	buffer_load_dwordx4 a[24:27], v35, s[24:27], 0 offen offset:2048// 000000007920: E05C1800 80861823
	v_mfma_i32_16x16x32_i8 v[76:79], a[114:115], v[194:195], v[76:79]// 000000007928: D3D7004C 0D338572
	v_mfma_i32_16x16x32_i8 v[76:79], a[116:117], v[196:197], v[76:79]// 000000007930: D3D7004C 0D338974
	v_mfma_i32_16x16x32_i8 v[76:79], a[118:119], v[198:199], v[76:79]// 000000007938: D3D7004C 0D338D76
	v_mfma_i32_16x16x32_i8 v[76:79], a[120:121], v[200:201], v[76:79]// 000000007940: D3D7004C 0D339178
	buffer_load_dwordx4 a[28:31], v35, s[24:27], 0 offen offset:3072// 000000007948: E05C1C00 80861C23
	v_mfma_i32_16x16x32_i8 v[76:79], a[122:123], v[202:203], v[76:79]// 000000007950: D3D7004C 0D33957A
	v_mfma_i32_16x16x32_i8 v[76:79], a[124:125], v[204:205], v[76:79]// 000000007958: D3D7004C 0D33997C
	v_mfma_i32_16x16x32_i8 v[76:79], a[126:127], v[206:207], v[76:79]// 000000007960: D3D7004C 0D339D7E
	s_waitcnt vmcnt(20)                                        // 000000007968: BF8C4F74
	v_mfma_i32_16x16x32_i8 v[80:83], a[128:129], v[176:177], v[80:83]// 00000000796C: D3D70050 0D436180
	buffer_load_dwordx4 a[32:35], v36, s[24:27], 0 offen       // 000000007974: E05C1000 80862024
	v_mfma_i32_16x16x32_i8 v[80:83], a[130:131], v[178:179], v[80:83]// 00000000797C: D3D70050 0D436582
	v_mfma_i32_16x16x32_i8 v[80:83], a[132:133], v[180:181], v[80:83]// 000000007984: D3D70050 0D436984
	ds_read_b128 v[208:211], v2 offset:8320                    // 00000000798C: D9FE2080 D0000002
	v_mfma_i32_16x16x32_i8 v[80:83], a[134:135], v[182:183], v[80:83]// 000000007994: D3D70050 0D436D86
	v_mfma_i32_16x16x32_i8 v[80:83], a[136:137], v[184:185], v[80:83]// 00000000799C: D3D70050 0D437188
	buffer_load_dwordx4 a[36:39], v36, s[24:27], 0 offen offset:1024// 0000000079A4: E05C1400 80862424
	v_mfma_i32_16x16x32_i8 v[80:83], a[138:139], v[186:187], v[80:83]// 0000000079AC: D3D70050 0D43758A
	v_mfma_i32_16x16x32_i8 v[80:83], a[140:141], v[188:189], v[80:83]// 0000000079B4: D3D70050 0D43798C
	ds_read_b128 v[212:215], v2 offset:8384                    // 0000000079BC: D9FE20C0 D4000002
	v_mfma_i32_16x16x32_i8 v[80:83], a[142:143], v[190:191], v[80:83]// 0000000079C4: D3D70050 0D437D8E
	v_mfma_i32_16x16x32_i8 v[84:87], a[128:129], v[192:193], v[84:87]// 0000000079CC: D3D70054 0D538180
	buffer_load_dwordx4 a[40:43], v36, s[24:27], 0 offen offset:2048// 0000000079D4: E05C1800 80862824
	v_mfma_i32_16x16x32_i8 v[84:87], a[130:131], v[194:195], v[84:87]// 0000000079DC: D3D70054 0D538582
	v_mfma_i32_16x16x32_i8 v[84:87], a[132:133], v[196:197], v[84:87]// 0000000079E4: D3D70054 0D538984
	ds_read_b128 v[216:219], v2 offset:8448                    // 0000000079EC: D9FE2100 D8000002
	v_mfma_i32_16x16x32_i8 v[84:87], a[134:135], v[198:199], v[84:87]// 0000000079F4: D3D70054 0D538D86
	v_mfma_i32_16x16x32_i8 v[84:87], a[136:137], v[200:201], v[84:87]// 0000000079FC: D3D70054 0D539188
	buffer_load_dwordx4 a[44:47], v36, s[24:27], 0 offen offset:3072// 000000007A04: E05C1C00 80862C24
	v_mfma_i32_16x16x32_i8 v[84:87], a[138:139], v[202:203], v[84:87]// 000000007A0C: D3D70054 0D53958A
	v_mfma_i32_16x16x32_i8 v[84:87], a[140:141], v[204:205], v[84:87]// 000000007A14: D3D70054 0D53998C
	ds_read_b128 v[220:223], v2 offset:8512                    // 000000007A1C: D9FE2140 DC000002
	v_mfma_i32_16x16x32_i8 v[84:87], a[142:143], v[206:207], v[84:87]// 000000007A24: D3D70054 0D539D8E
	s_waitcnt vmcnt(20)                                        // 000000007A2C: BF8C4F74
	v_mfma_i32_16x16x32_i8 v[88:91], a[144:145], v[176:177], v[88:91]// 000000007A30: D3D70058 0D636190
	buffer_load_dwordx4 a[48:51], v37, s[24:27], 0 offen       // 000000007A38: E05C1000 80863025
	v_mfma_i32_16x16x32_i8 v[88:91], a[146:147], v[178:179], v[88:91]// 000000007A40: D3D70058 0D636592
	v_mfma_i32_16x16x32_i8 v[88:91], a[148:149], v[180:181], v[88:91]// 000000007A48: D3D70058 0D636994
	ds_read_b128 v[224:227], v2 offset:9344                    // 000000007A50: D9FE2480 E0000002
	v_mfma_i32_16x16x32_i8 v[88:91], a[150:151], v[182:183], v[88:91]// 000000007A58: D3D70058 0D636D96
	v_mfma_i32_16x16x32_i8 v[88:91], a[152:153], v[184:185], v[88:91]// 000000007A60: D3D70058 0D637198
	buffer_load_dwordx4 a[52:55], v37, s[24:27], 0 offen offset:1024// 000000007A68: E05C1400 80863425
	v_mfma_i32_16x16x32_i8 v[88:91], a[154:155], v[186:187], v[88:91]// 000000007A70: D3D70058 0D63759A
	v_mfma_i32_16x16x32_i8 v[88:91], a[156:157], v[188:189], v[88:91]// 000000007A78: D3D70058 0D63799C
	ds_read_b128 v[228:231], v2 offset:9408                    // 000000007A80: D9FE24C0 E4000002
	v_mfma_i32_16x16x32_i8 v[88:91], a[158:159], v[190:191], v[88:91]// 000000007A88: D3D70058 0D637D9E
	v_mfma_i32_16x16x32_i8 v[92:95], a[144:145], v[192:193], v[92:95]// 000000007A90: D3D7005C 0D738190
	buffer_load_dwordx4 a[56:59], v37, s[24:27], 0 offen offset:2048// 000000007A98: E05C1800 80863825
	v_mfma_i32_16x16x32_i8 v[92:95], a[146:147], v[194:195], v[92:95]// 000000007AA0: D3D7005C 0D738592
	v_mfma_i32_16x16x32_i8 v[92:95], a[148:149], v[196:197], v[92:95]// 000000007AA8: D3D7005C 0D738994
	ds_read_b128 v[232:235], v2 offset:9472                    // 000000007AB0: D9FE2500 E8000002
	v_mfma_i32_16x16x32_i8 v[92:95], a[150:151], v[198:199], v[92:95]// 000000007AB8: D3D7005C 0D738D96
	v_mfma_i32_16x16x32_i8 v[92:95], a[152:153], v[200:201], v[92:95]// 000000007AC0: D3D7005C 0D739198
	buffer_load_dwordx4 a[60:63], v37, s[24:27], 0 offen offset:3072// 000000007AC8: E05C1C00 80863C25
	v_mfma_i32_16x16x32_i8 v[92:95], a[154:155], v[202:203], v[92:95]// 000000007AD0: D3D7005C 0D73959A
	v_mfma_i32_16x16x32_i8 v[92:95], a[156:157], v[204:205], v[92:95]// 000000007AD8: D3D7005C 0D73999C
	ds_read_b128 v[236:239], v2 offset:9536                    // 000000007AE0: D9FE2540 EC000002
	v_mfma_i32_16x16x32_i8 v[92:95], a[158:159], v[206:207], v[92:95]// 000000007AE8: D3D7005C 0D739D9E
	s_waitcnt vmcnt(20)                                        // 000000007AF0: BF8C4F74
	v_mfma_i32_16x16x32_i8 v[96:99], a[160:161], v[176:177], v[96:99]// 000000007AF4: D3D70060 0D8361A0
	buffer_load_dwordx4 a[64:67], v38, s[24:27], 0 offen       // 000000007AFC: E05C1000 80864026
	v_mfma_i32_16x16x32_i8 v[96:99], a[162:163], v[178:179], v[96:99]// 000000007B04: D3D70060 0D8365A2
	v_mfma_i32_16x16x32_i8 v[96:99], a[164:165], v[180:181], v[96:99]// 000000007B0C: D3D70060 0D8369A4
	v_mfma_i32_16x16x32_i8 v[96:99], a[166:167], v[182:183], v[96:99]// 000000007B14: D3D70060 0D836DA6
	v_mfma_i32_16x16x32_i8 v[96:99], a[168:169], v[184:185], v[96:99]// 000000007B1C: D3D70060 0D8371A8
	buffer_load_dwordx4 a[68:71], v38, s[24:27], 0 offen offset:1024// 000000007B24: E05C1400 80864426
	v_mfma_i32_16x16x32_i8 v[96:99], a[170:171], v[186:187], v[96:99]// 000000007B2C: D3D70060 0D8375AA
	v_mfma_i32_16x16x32_i8 v[96:99], a[172:173], v[188:189], v[96:99]// 000000007B34: D3D70060 0D8379AC
	v_mfma_i32_16x16x32_i8 v[96:99], a[174:175], v[190:191], v[96:99]// 000000007B3C: D3D70060 0D837DAE
	v_mfma_i32_16x16x32_i8 v[100:103], a[160:161], v[192:193], v[100:103]// 000000007B44: D3D70064 0D9381A0
	buffer_load_dwordx4 a[72:75], v38, s[24:27], 0 offen offset:2048// 000000007B4C: E05C1800 80864826
	v_mfma_i32_16x16x32_i8 v[100:103], a[162:163], v[194:195], v[100:103]// 000000007B54: D3D70064 0D9385A2
	v_mfma_i32_16x16x32_i8 v[100:103], a[164:165], v[196:197], v[100:103]// 000000007B5C: D3D70064 0D9389A4
	v_mfma_i32_16x16x32_i8 v[100:103], a[166:167], v[198:199], v[100:103]// 000000007B64: D3D70064 0D938DA6
	v_mfma_i32_16x16x32_i8 v[100:103], a[168:169], v[200:201], v[100:103]// 000000007B6C: D3D70064 0D9391A8
	buffer_load_dwordx4 a[76:79], v38, s[24:27], 0 offen offset:3072// 000000007B74: E05C1C00 80864C26
	v_mfma_i32_16x16x32_i8 v[100:103], a[170:171], v[202:203], v[100:103]// 000000007B7C: D3D70064 0D9395AA
	v_mfma_i32_16x16x32_i8 v[100:103], a[172:173], v[204:205], v[100:103]// 000000007B84: D3D70064 0D9399AC
	v_mfma_i32_16x16x32_i8 v[100:103], a[174:175], v[206:207], v[100:103]// 000000007B8C: D3D70064 0D939DAE
	s_waitcnt vmcnt(20)                                        // 000000007B94: BF8C4F74
	v_mfma_i32_16x16x32_i8 v[104:107], a[176:177], v[176:177], v[104:107]// 000000007B98: D3D70068 0DA361B0
	buffer_load_dwordx4 a[80:83], v39, s[24:27], 0 offen       // 000000007BA0: E05C1000 80865027
	v_mfma_i32_16x16x32_i8 v[104:107], a[178:179], v[178:179], v[104:107]// 000000007BA8: D3D70068 0DA365B2
	v_mfma_i32_16x16x32_i8 v[104:107], a[180:181], v[180:181], v[104:107]// 000000007BB0: D3D70068 0DA369B4
	v_mfma_i32_16x16x32_i8 v[104:107], a[182:183], v[182:183], v[104:107]// 000000007BB8: D3D70068 0DA36DB6
	v_mfma_i32_16x16x32_i8 v[104:107], a[184:185], v[184:185], v[104:107]// 000000007BC0: D3D70068 0DA371B8
	buffer_load_dwordx4 a[84:87], v39, s[24:27], 0 offen offset:1024// 000000007BC8: E05C1400 80865427
	v_mfma_i32_16x16x32_i8 v[104:107], a[186:187], v[186:187], v[104:107]// 000000007BD0: D3D70068 0DA375BA
	v_mfma_i32_16x16x32_i8 v[104:107], a[188:189], v[188:189], v[104:107]// 000000007BD8: D3D70068 0DA379BC
	v_mfma_i32_16x16x32_i8 v[104:107], a[190:191], v[190:191], v[104:107]// 000000007BE0: D3D70068 0DA37DBE
	v_mfma_i32_16x16x32_i8 v[108:111], a[176:177], v[192:193], v[108:111]// 000000007BE8: D3D7006C 0DB381B0
	buffer_load_dwordx4 a[88:91], v39, s[24:27], 0 offen offset:2048// 000000007BF0: E05C1800 80865827
	v_mfma_i32_16x16x32_i8 v[108:111], a[178:179], v[194:195], v[108:111]// 000000007BF8: D3D7006C 0DB385B2
	v_mfma_i32_16x16x32_i8 v[108:111], a[180:181], v[196:197], v[108:111]// 000000007C00: D3D7006C 0DB389B4
	v_mfma_i32_16x16x32_i8 v[108:111], a[182:183], v[198:199], v[108:111]// 000000007C08: D3D7006C 0DB38DB6
	v_mfma_i32_16x16x32_i8 v[108:111], a[184:185], v[200:201], v[108:111]// 000000007C10: D3D7006C 0DB391B8
	buffer_load_dwordx4 a[92:95], v39, s[24:27], 0 offen offset:3072// 000000007C18: E05C1C00 80865C27
	v_mfma_i32_16x16x32_i8 v[108:111], a[186:187], v[202:203], v[108:111]// 000000007C20: D3D7006C 0DB395BA
	v_mfma_i32_16x16x32_i8 v[108:111], a[188:189], v[204:205], v[108:111]// 000000007C28: D3D7006C 0DB399BC
	v_mfma_i32_16x16x32_i8 v[108:111], a[190:191], v[206:207], v[108:111]// 000000007C30: D3D7006C 0DB39DBE
	s_add_u32 s60, 0x200, s80                                  // 000000007C38: 803C50FF 00000200
	s_cmp_lt_u32 s60, s81                                      // 000000007C40: BF0A513C
	s_cselect_b32 s57, s57, 0                                  // 000000007C44: 85398039
	s_add_u32 s60, 0x200, s80                                  // 000000007C48: 803C50FF 00000200
	s_cmp_lt_u32 s60, s81                                      // 000000007C50: BF0A513C
	s_cselect_b32 s58, s58, 0                                  // 000000007C54: 853A803A
	s_add_u32 s20, s57, s20                                    // 000000007C58: 80141439
	s_addc_u32 s21, 0, s21                                     // 000000007C5C: 82151580
	s_add_u32 s24, s58, s24                                    // 000000007C60: 8018183A
	s_addc_u32 s25, 0, s25                                     // 000000007C64: 82191980
	s_add_u32 s92, s90, s92                                    // 000000007C68: 805C5C5A
	s_addc_u32 s93, 0, s93                                     // 000000007C6C: 825D5D80
	s_addk_i32 s80, 0x100                                      // 000000007C70: B7500100
	s_cmp_lt_i32 s80, s81                                      // 000000007C74: BF045150
	s_cbranch_scc0 label_15CC                                  // 000000007C78: BF84022D
	s_waitcnt vmcnt(16) lgkmcnt(0)                             // 000000007C7C: BF8C4070
	s_barrier                                                  // 000000007C80: BF8A0000
	v_mfma_i32_16x16x32_i8 v[128:131], a[0:1], v[208:209], v[128:131]// 000000007C84: D3D70080 0E03A100
	buffer_load_dwordx4 a[96:99], v34, s[92:95], 0 offen       // 000000007C8C: E05C1000 80976022
	v_mfma_i32_16x16x32_i8 v[128:131], a[2:3], v[210:211], v[128:131]// 000000007C94: D3D70080 0E03A502
	v_mfma_i32_16x16x32_i8 v[128:131], a[4:5], v[212:213], v[128:131]// 000000007C9C: D3D70080 0E03A904
	buffer_load_dword v26, s[20:23], 0 offen lds               // 000000007CA4: E0511000 8005001A
	s_add_u32 m0, 0x100, s50                                   // 000000007CAC: 807C32FF 00000100
	v_mfma_i32_16x16x32_i8 v[128:131], a[6:7], v[214:215], v[128:131]// 000000007CB4: D3D70080 0E03AD06
	v_mfma_i32_16x16x32_i8 v[128:131], a[8:9], v[216:217], v[128:131]// 000000007CBC: D3D70080 0E03B108
	buffer_load_dwordx4 a[100:103], v34, s[92:95], 0 offen offset:1024// 000000007CC4: E05C1400 80976422
	v_mfma_i32_16x16x32_i8 v[128:131], a[10:11], v[218:219], v[128:131]// 000000007CCC: D3D70080 0E03B50A
	v_mfma_i32_16x16x32_i8 v[128:131], a[12:13], v[220:221], v[128:131]// 000000007CD4: D3D70080 0E03B90C
	buffer_load_dword v27, s[20:23], 0 offen lds               // 000000007CDC: E0511000 8005001B
	s_add_u32 m0, 0x200, s50                                   // 000000007CE4: 807C32FF 00000200
	v_mfma_i32_16x16x32_i8 v[128:131], a[14:15], v[222:223], v[128:131]// 000000007CEC: D3D70080 0E03BD0E
	v_mfma_i32_16x16x32_i8 v[132:135], a[0:1], v[224:225], v[132:135]// 000000007CF4: D3D70084 0E13C100
	buffer_load_dwordx4 a[104:107], v34, s[92:95], 0 offen offset:2048// 000000007CFC: E05C1800 80976822
	v_mfma_i32_16x16x32_i8 v[132:135], a[2:3], v[226:227], v[132:135]// 000000007D04: D3D70084 0E13C502
	v_mfma_i32_16x16x32_i8 v[132:135], a[4:5], v[228:229], v[132:135]// 000000007D0C: D3D70084 0E13C904
	buffer_load_dword v28, s[20:23], 0 offen lds               // 000000007D14: E0511000 8005001C
	s_add_u32 m0, 0x300, s50                                   // 000000007D1C: 807C32FF 00000300
	v_mfma_i32_16x16x32_i8 v[132:135], a[6:7], v[230:231], v[132:135]// 000000007D24: D3D70084 0E13CD06
	v_mfma_i32_16x16x32_i8 v[132:135], a[8:9], v[232:233], v[132:135]// 000000007D2C: D3D70084 0E13D108
	buffer_load_dwordx4 a[108:111], v34, s[92:95], 0 offen offset:3072// 000000007D34: E05C1C00 80976C22
	v_mfma_i32_16x16x32_i8 v[132:135], a[10:11], v[234:235], v[132:135]// 000000007D3C: D3D70084 0E13D50A
	v_mfma_i32_16x16x32_i8 v[132:135], a[12:13], v[236:237], v[132:135]// 000000007D44: D3D70084 0E13D90C
	buffer_load_dword v29, s[20:23], 0 offen lds               // 000000007D4C: E0511000 8005001D
	s_add_u32 m0, 0x400, s50                                   // 000000007D54: 807C32FF 00000400
	v_mfma_i32_16x16x32_i8 v[132:135], a[14:15], v[238:239], v[132:135]// 000000007D5C: D3D70084 0E13DD0E
	v_mfma_i32_16x16x32_i8 v[136:139], a[16:17], v[208:209], v[136:139]// 000000007D64: D3D70088 0E23A110
	buffer_load_dwordx4 a[112:115], v35, s[92:95], 0 offen     // 000000007D6C: E05C1000 80977023
	v_mfma_i32_16x16x32_i8 v[136:139], a[18:19], v[210:211], v[136:139]// 000000007D74: D3D70088 0E23A512
	v_mfma_i32_16x16x32_i8 v[136:139], a[20:21], v[212:213], v[136:139]// 000000007D7C: D3D70088 0E23A914
	buffer_load_dword v30, s[20:23], 0 offen lds               // 000000007D84: E0511000 8005001E
	s_add_u32 m0, 0x500, s50                                   // 000000007D8C: 807C32FF 00000500
	v_mfma_i32_16x16x32_i8 v[136:139], a[22:23], v[214:215], v[136:139]// 000000007D94: D3D70088 0E23AD16
	v_mfma_i32_16x16x32_i8 v[136:139], a[24:25], v[216:217], v[136:139]// 000000007D9C: D3D70088 0E23B118
	buffer_load_dwordx4 a[116:119], v35, s[92:95], 0 offen offset:1024// 000000007DA4: E05C1400 80977423
	v_mfma_i32_16x16x32_i8 v[136:139], a[26:27], v[218:219], v[136:139]// 000000007DAC: D3D70088 0E23B51A
	v_mfma_i32_16x16x32_i8 v[136:139], a[28:29], v[220:221], v[136:139]// 000000007DB4: D3D70088 0E23B91C
	buffer_load_dword v31, s[20:23], 0 offen lds               // 000000007DBC: E0511000 8005001F
	s_add_u32 m0, 0x600, s50                                   // 000000007DC4: 807C32FF 00000600
	v_mfma_i32_16x16x32_i8 v[136:139], a[30:31], v[222:223], v[136:139]// 000000007DCC: D3D70088 0E23BD1E
	v_mfma_i32_16x16x32_i8 v[140:143], a[16:17], v[224:225], v[140:143]// 000000007DD4: D3D7008C 0E33C110
	buffer_load_dwordx4 a[120:123], v35, s[92:95], 0 offen offset:2048// 000000007DDC: E05C1800 80977823
	v_mfma_i32_16x16x32_i8 v[140:143], a[18:19], v[226:227], v[140:143]// 000000007DE4: D3D7008C 0E33C512
	v_mfma_i32_16x16x32_i8 v[140:143], a[20:21], v[228:229], v[140:143]// 000000007DEC: D3D7008C 0E33C914
	buffer_load_dword v32, s[20:23], 0 offen lds               // 000000007DF4: E0511000 80050020
	s_add_u32 m0, 0x700, s50                                   // 000000007DFC: 807C32FF 00000700
	v_mfma_i32_16x16x32_i8 v[140:143], a[22:23], v[230:231], v[140:143]// 000000007E04: D3D7008C 0E33CD16
	v_mfma_i32_16x16x32_i8 v[140:143], a[24:25], v[232:233], v[140:143]// 000000007E0C: D3D7008C 0E33D118
	buffer_load_dwordx4 a[124:127], v35, s[92:95], 0 offen offset:3072// 000000007E14: E05C1C00 80977C23
	v_mfma_i32_16x16x32_i8 v[140:143], a[26:27], v[234:235], v[140:143]// 000000007E1C: D3D7008C 0E33D51A
	v_mfma_i32_16x16x32_i8 v[140:143], a[28:29], v[236:237], v[140:143]// 000000007E24: D3D7008C 0E33D91C
	buffer_load_dword v33, s[20:23], 0 offen lds               // 000000007E2C: E0511000 80050021
	s_add_u32 m0, 0, s51                                       // 000000007E34: 807C3380
	v_mfma_i32_16x16x32_i8 v[140:143], a[30:31], v[238:239], v[140:143]// 000000007E38: D3D7008C 0E33DD1E
	s_waitcnt vmcnt(28)                                        // 000000007E40: BF8C4F7C
	v_mfma_i32_16x16x32_i8 v[144:147], a[32:33], v[208:209], v[144:147]// 000000007E44: D3D70090 0E43A120
	buffer_load_dwordx4 a[128:131], v36, s[92:95], 0 offen     // 000000007E4C: E05C1000 80978024
	v_mfma_i32_16x16x32_i8 v[144:147], a[34:35], v[210:211], v[144:147]// 000000007E54: D3D70090 0E43A522
	v_mfma_i32_16x16x32_i8 v[144:147], a[36:37], v[212:213], v[144:147]// 000000007E5C: D3D70090 0E43A924
	v_mfma_i32_16x16x32_i8 v[144:147], a[38:39], v[214:215], v[144:147]// 000000007E64: D3D70090 0E43AD26
	v_mfma_i32_16x16x32_i8 v[144:147], a[40:41], v[216:217], v[144:147]// 000000007E6C: D3D70090 0E43B128
	buffer_load_dwordx4 a[132:135], v36, s[92:95], 0 offen offset:1024// 000000007E74: E05C1400 80978424
	v_mfma_i32_16x16x32_i8 v[144:147], a[42:43], v[218:219], v[144:147]// 000000007E7C: D3D70090 0E43B52A
	v_mfma_i32_16x16x32_i8 v[144:147], a[44:45], v[220:221], v[144:147]// 000000007E84: D3D70090 0E43B92C
	v_mfma_i32_16x16x32_i8 v[144:147], a[46:47], v[222:223], v[144:147]// 000000007E8C: D3D70090 0E43BD2E
	v_mfma_i32_16x16x32_i8 v[148:151], a[32:33], v[224:225], v[148:151]// 000000007E94: D3D70094 0E53C120
	buffer_load_dwordx4 a[136:139], v36, s[92:95], 0 offen offset:2048// 000000007E9C: E05C1800 80978824
	v_mfma_i32_16x16x32_i8 v[148:151], a[34:35], v[226:227], v[148:151]// 000000007EA4: D3D70094 0E53C522
	v_mfma_i32_16x16x32_i8 v[148:151], a[36:37], v[228:229], v[148:151]// 000000007EAC: D3D70094 0E53C924
	v_mfma_i32_16x16x32_i8 v[148:151], a[38:39], v[230:231], v[148:151]// 000000007EB4: D3D70094 0E53CD26
	v_mfma_i32_16x16x32_i8 v[148:151], a[40:41], v[232:233], v[148:151]// 000000007EBC: D3D70094 0E53D128
	buffer_load_dwordx4 a[140:143], v36, s[92:95], 0 offen offset:3072// 000000007EC4: E05C1C00 80978C24
	v_mfma_i32_16x16x32_i8 v[148:151], a[42:43], v[234:235], v[148:151]// 000000007ECC: D3D70094 0E53D52A
	v_mfma_i32_16x16x32_i8 v[148:151], a[44:45], v[236:237], v[148:151]// 000000007ED4: D3D70094 0E53D92C
	v_mfma_i32_16x16x32_i8 v[148:151], a[46:47], v[238:239], v[148:151]// 000000007EDC: D3D70094 0E53DD2E
	s_waitcnt vmcnt(28)                                        // 000000007EE4: BF8C4F7C
	v_mfma_i32_16x16x32_i8 v[152:155], a[48:49], v[208:209], v[152:155]// 000000007EE8: D3D70098 0E63A130
	buffer_load_dwordx4 a[144:147], v37, s[92:95], 0 offen     // 000000007EF0: E05C1000 80979025
	v_mfma_i32_16x16x32_i8 v[152:155], a[50:51], v[210:211], v[152:155]// 000000007EF8: D3D70098 0E63A532
	v_mfma_i32_16x16x32_i8 v[152:155], a[52:53], v[212:213], v[152:155]// 000000007F00: D3D70098 0E63A934
	v_mfma_i32_16x16x32_i8 v[152:155], a[54:55], v[214:215], v[152:155]// 000000007F08: D3D70098 0E63AD36
	v_mfma_i32_16x16x32_i8 v[152:155], a[56:57], v[216:217], v[152:155]// 000000007F10: D3D70098 0E63B138
	buffer_load_dwordx4 a[148:151], v37, s[92:95], 0 offen offset:1024// 000000007F18: E05C1400 80979425
	v_mfma_i32_16x16x32_i8 v[152:155], a[58:59], v[218:219], v[152:155]// 000000007F20: D3D70098 0E63B53A
	v_mfma_i32_16x16x32_i8 v[152:155], a[60:61], v[220:221], v[152:155]// 000000007F28: D3D70098 0E63B93C
	v_mfma_i32_16x16x32_i8 v[152:155], a[62:63], v[222:223], v[152:155]// 000000007F30: D3D70098 0E63BD3E
	v_mfma_i32_16x16x32_i8 v[156:159], a[48:49], v[224:225], v[156:159]// 000000007F38: D3D7009C 0E73C130
	buffer_load_dwordx4 a[152:155], v37, s[92:95], 0 offen offset:2048// 000000007F40: E05C1800 80979825
	v_mfma_i32_16x16x32_i8 v[156:159], a[50:51], v[226:227], v[156:159]// 000000007F48: D3D7009C 0E73C532
	v_mfma_i32_16x16x32_i8 v[156:159], a[52:53], v[228:229], v[156:159]// 000000007F50: D3D7009C 0E73C934
	v_mfma_i32_16x16x32_i8 v[156:159], a[54:55], v[230:231], v[156:159]// 000000007F58: D3D7009C 0E73CD36
	v_mfma_i32_16x16x32_i8 v[156:159], a[56:57], v[232:233], v[156:159]// 000000007F60: D3D7009C 0E73D138
	buffer_load_dwordx4 a[156:159], v37, s[92:95], 0 offen offset:3072// 000000007F68: E05C1C00 80979C25
	v_mfma_i32_16x16x32_i8 v[156:159], a[58:59], v[234:235], v[156:159]// 000000007F70: D3D7009C 0E73D53A
	v_mfma_i32_16x16x32_i8 v[156:159], a[60:61], v[236:237], v[156:159]// 000000007F78: D3D7009C 0E73D93C
	v_mfma_i32_16x16x32_i8 v[156:159], a[62:63], v[238:239], v[156:159]// 000000007F80: D3D7009C 0E73DD3E
	s_waitcnt vmcnt(28)                                        // 000000007F88: BF8C4F7C
	v_mfma_i32_16x16x32_i8 v[160:163], a[64:65], v[208:209], v[160:163]// 000000007F8C: D3D700A0 0E83A140
	buffer_load_dwordx4 a[160:163], v38, s[92:95], 0 offen     // 000000007F94: E05C1000 8097A026
	v_mfma_i32_16x16x32_i8 v[160:163], a[66:67], v[210:211], v[160:163]// 000000007F9C: D3D700A0 0E83A542
	v_mfma_i32_16x16x32_i8 v[160:163], a[68:69], v[212:213], v[160:163]// 000000007FA4: D3D700A0 0E83A944
	v_mfma_i32_16x16x32_i8 v[160:163], a[70:71], v[214:215], v[160:163]// 000000007FAC: D3D700A0 0E83AD46
	v_mfma_i32_16x16x32_i8 v[160:163], a[72:73], v[216:217], v[160:163]// 000000007FB4: D3D700A0 0E83B148
	buffer_load_dwordx4 a[164:167], v38, s[92:95], 0 offen offset:1024// 000000007FBC: E05C1400 8097A426
	v_mfma_i32_16x16x32_i8 v[160:163], a[74:75], v[218:219], v[160:163]// 000000007FC4: D3D700A0 0E83B54A
	v_mfma_i32_16x16x32_i8 v[160:163], a[76:77], v[220:221], v[160:163]// 000000007FCC: D3D700A0 0E83B94C
	v_mfma_i32_16x16x32_i8 v[160:163], a[78:79], v[222:223], v[160:163]// 000000007FD4: D3D700A0 0E83BD4E
	v_mfma_i32_16x16x32_i8 v[164:167], a[64:65], v[224:225], v[164:167]// 000000007FDC: D3D700A4 0E93C140
	buffer_load_dwordx4 a[168:171], v38, s[92:95], 0 offen offset:2048// 000000007FE4: E05C1800 8097A826
	v_mfma_i32_16x16x32_i8 v[164:167], a[66:67], v[226:227], v[164:167]// 000000007FEC: D3D700A4 0E93C542
	v_mfma_i32_16x16x32_i8 v[164:167], a[68:69], v[228:229], v[164:167]// 000000007FF4: D3D700A4 0E93C944
	v_mfma_i32_16x16x32_i8 v[164:167], a[70:71], v[230:231], v[164:167]// 000000007FFC: D3D700A4 0E93CD46
	v_mfma_i32_16x16x32_i8 v[164:167], a[72:73], v[232:233], v[164:167]// 000000008004: D3D700A4 0E93D148
	buffer_load_dwordx4 a[172:175], v38, s[92:95], 0 offen offset:3072// 00000000800C: E05C1C00 8097AC26
	v_mfma_i32_16x16x32_i8 v[164:167], a[74:75], v[234:235], v[164:167]// 000000008014: D3D700A4 0E93D54A
	v_mfma_i32_16x16x32_i8 v[164:167], a[76:77], v[236:237], v[164:167]// 00000000801C: D3D700A4 0E93D94C
	v_mfma_i32_16x16x32_i8 v[164:167], a[78:79], v[238:239], v[164:167]// 000000008024: D3D700A4 0E93DD4E
	s_waitcnt vmcnt(28)                                        // 00000000802C: BF8C4F7C
	v_mfma_i32_16x16x32_i8 v[168:171], a[80:81], v[208:209], v[168:171]// 000000008030: D3D700A8 0EA3A150
	buffer_load_dwordx4 a[176:179], v39, s[92:95], 0 offen     // 000000008038: E05C1000 8097B027
	v_mfma_i32_16x16x32_i8 v[168:171], a[82:83], v[210:211], v[168:171]// 000000008040: D3D700A8 0EA3A552
	v_mfma_i32_16x16x32_i8 v[168:171], a[84:85], v[212:213], v[168:171]// 000000008048: D3D700A8 0EA3A954
	v_mfma_i32_16x16x32_i8 v[168:171], a[86:87], v[214:215], v[168:171]// 000000008050: D3D700A8 0EA3AD56
	v_mfma_i32_16x16x32_i8 v[168:171], a[88:89], v[216:217], v[168:171]// 000000008058: D3D700A8 0EA3B158
	buffer_load_dwordx4 a[180:183], v39, s[92:95], 0 offen offset:1024// 000000008060: E05C1400 8097B427
	v_mfma_i32_16x16x32_i8 v[168:171], a[90:91], v[218:219], v[168:171]// 000000008068: D3D700A8 0EA3B55A
	v_mfma_i32_16x16x32_i8 v[168:171], a[92:93], v[220:221], v[168:171]// 000000008070: D3D700A8 0EA3B95C
	v_mfma_i32_16x16x32_i8 v[168:171], a[94:95], v[222:223], v[168:171]// 000000008078: D3D700A8 0EA3BD5E
	v_mfma_i32_16x16x32_i8 v[172:175], a[80:81], v[224:225], v[172:175]// 000000008080: D3D700AC 0EB3C150
	buffer_load_dwordx4 a[184:187], v39, s[92:95], 0 offen offset:2048// 000000008088: E05C1800 8097B827
	v_mfma_i32_16x16x32_i8 v[172:175], a[82:83], v[226:227], v[172:175]// 000000008090: D3D700AC 0EB3C552
	v_mfma_i32_16x16x32_i8 v[172:175], a[84:85], v[228:229], v[172:175]// 000000008098: D3D700AC 0EB3C954
	v_mfma_i32_16x16x32_i8 v[172:175], a[86:87], v[230:231], v[172:175]// 0000000080A0: D3D700AC 0EB3CD56
	v_mfma_i32_16x16x32_i8 v[172:175], a[88:89], v[232:233], v[172:175]// 0000000080A8: D3D700AC 0EB3D158
	buffer_load_dwordx4 a[188:191], v39, s[92:95], 0 offen offset:3072// 0000000080B0: E05C1C00 8097BC27
	v_mfma_i32_16x16x32_i8 v[172:175], a[90:91], v[234:235], v[172:175]// 0000000080B8: D3D700AC 0EB3D55A
	v_mfma_i32_16x16x32_i8 v[172:175], a[92:93], v[236:237], v[172:175]// 0000000080C0: D3D700AC 0EB3D95C
	v_mfma_i32_16x16x32_i8 v[172:175], a[94:95], v[238:239], v[172:175]// 0000000080C8: D3D700AC 0EB3DD5E
	s_waitcnt vmcnt(16)                                        // 0000000080D0: BF8C4F70
	s_barrier                                                  // 0000000080D4: BF8A0000
	v_mfma_i32_16x16x32_i8 v[64:67], a[96:97], v[208:209], v[64:67]// 0000000080D8: D3D70040 0D03A160
	buffer_load_dwordx4 a[0:3], v34, s[24:27], 0 offen         // 0000000080E0: E05C1000 80860022
	v_mfma_i32_16x16x32_i8 v[64:67], a[98:99], v[210:211], v[64:67]// 0000000080E8: D3D70040 0D03A562
	v_mfma_i32_16x16x32_i8 v[64:67], a[100:101], v[212:213], v[64:67]// 0000000080F0: D3D70040 0D03A964
	v_mfma_i32_16x16x32_i8 v[64:67], a[102:103], v[214:215], v[64:67]// 0000000080F8: D3D70040 0D03AD66
	v_mfma_i32_16x16x32_i8 v[64:67], a[104:105], v[216:217], v[64:67]// 000000008100: D3D70040 0D03B168
	buffer_load_dwordx4 a[4:7], v34, s[24:27], 0 offen offset:1024// 000000008108: E05C1400 80860422
	v_mfma_i32_16x16x32_i8 v[64:67], a[106:107], v[218:219], v[64:67]// 000000008110: D3D70040 0D03B56A
	v_mfma_i32_16x16x32_i8 v[64:67], a[108:109], v[220:221], v[64:67]// 000000008118: D3D70040 0D03B96C
	v_mfma_i32_16x16x32_i8 v[64:67], a[110:111], v[222:223], v[64:67]// 000000008120: D3D70040 0D03BD6E
	v_mfma_i32_16x16x32_i8 v[68:71], a[96:97], v[224:225], v[68:71]// 000000008128: D3D70044 0D13C160
	buffer_load_dwordx4 a[8:11], v34, s[24:27], 0 offen offset:2048// 000000008130: E05C1800 80860822
	v_mfma_i32_16x16x32_i8 v[68:71], a[98:99], v[226:227], v[68:71]// 000000008138: D3D70044 0D13C562
	v_mfma_i32_16x16x32_i8 v[68:71], a[100:101], v[228:229], v[68:71]// 000000008140: D3D70044 0D13C964
	v_mfma_i32_16x16x32_i8 v[68:71], a[102:103], v[230:231], v[68:71]// 000000008148: D3D70044 0D13CD66
	v_mfma_i32_16x16x32_i8 v[68:71], a[104:105], v[232:233], v[68:71]// 000000008150: D3D70044 0D13D168
	buffer_load_dwordx4 a[12:15], v34, s[24:27], 0 offen offset:3072// 000000008158: E05C1C00 80860C22
	v_mfma_i32_16x16x32_i8 v[68:71], a[106:107], v[234:235], v[68:71]// 000000008160: D3D70044 0D13D56A
	v_mfma_i32_16x16x32_i8 v[68:71], a[108:109], v[236:237], v[68:71]// 000000008168: D3D70044 0D13D96C
	v_mfma_i32_16x16x32_i8 v[68:71], a[110:111], v[238:239], v[68:71]// 000000008170: D3D70044 0D13DD6E
	v_mfma_i32_16x16x32_i8 v[72:75], a[112:113], v[208:209], v[72:75]// 000000008178: D3D70048 0D23A170
	buffer_load_dwordx4 a[16:19], v35, s[24:27], 0 offen       // 000000008180: E05C1000 80861023
	v_mfma_i32_16x16x32_i8 v[72:75], a[114:115], v[210:211], v[72:75]// 000000008188: D3D70048 0D23A572
	v_mfma_i32_16x16x32_i8 v[72:75], a[116:117], v[212:213], v[72:75]// 000000008190: D3D70048 0D23A974
	v_mfma_i32_16x16x32_i8 v[72:75], a[118:119], v[214:215], v[72:75]// 000000008198: D3D70048 0D23AD76
	v_mfma_i32_16x16x32_i8 v[72:75], a[120:121], v[216:217], v[72:75]// 0000000081A0: D3D70048 0D23B178
	buffer_load_dwordx4 a[20:23], v35, s[24:27], 0 offen offset:1024// 0000000081A8: E05C1400 80861423
	v_mfma_i32_16x16x32_i8 v[72:75], a[122:123], v[218:219], v[72:75]// 0000000081B0: D3D70048 0D23B57A
	v_mfma_i32_16x16x32_i8 v[72:75], a[124:125], v[220:221], v[72:75]// 0000000081B8: D3D70048 0D23B97C
	v_mfma_i32_16x16x32_i8 v[72:75], a[126:127], v[222:223], v[72:75]// 0000000081C0: D3D70048 0D23BD7E
	v_mfma_i32_16x16x32_i8 v[76:79], a[112:113], v[224:225], v[76:79]// 0000000081C8: D3D7004C 0D33C170
	buffer_load_dwordx4 a[24:27], v35, s[24:27], 0 offen offset:2048// 0000000081D0: E05C1800 80861823
	v_mfma_i32_16x16x32_i8 v[76:79], a[114:115], v[226:227], v[76:79]// 0000000081D8: D3D7004C 0D33C572
	v_mfma_i32_16x16x32_i8 v[76:79], a[116:117], v[228:229], v[76:79]// 0000000081E0: D3D7004C 0D33C974
	v_mfma_i32_16x16x32_i8 v[76:79], a[118:119], v[230:231], v[76:79]// 0000000081E8: D3D7004C 0D33CD76
	v_mfma_i32_16x16x32_i8 v[76:79], a[120:121], v[232:233], v[76:79]// 0000000081F0: D3D7004C 0D33D178
	buffer_load_dwordx4 a[28:31], v35, s[24:27], 0 offen offset:3072// 0000000081F8: E05C1C00 80861C23
	v_mfma_i32_16x16x32_i8 v[76:79], a[122:123], v[234:235], v[76:79]// 000000008200: D3D7004C 0D33D57A
	v_mfma_i32_16x16x32_i8 v[76:79], a[124:125], v[236:237], v[76:79]// 000000008208: D3D7004C 0D33D97C
	v_mfma_i32_16x16x32_i8 v[76:79], a[126:127], v[238:239], v[76:79]// 000000008210: D3D7004C 0D33DD7E
	s_waitcnt vmcnt(20)                                        // 000000008218: BF8C4F74
	v_mfma_i32_16x16x32_i8 v[80:83], a[128:129], v[208:209], v[80:83]// 00000000821C: D3D70050 0D43A180
	buffer_load_dwordx4 a[32:35], v36, s[24:27], 0 offen       // 000000008224: E05C1000 80862024
	v_mfma_i32_16x16x32_i8 v[80:83], a[130:131], v[210:211], v[80:83]// 00000000822C: D3D70050 0D43A582
	v_mfma_i32_16x16x32_i8 v[80:83], a[132:133], v[212:213], v[80:83]// 000000008234: D3D70050 0D43A984
	ds_read_b128 v[176:179], v2                                // 00000000823C: D9FE0000 B0000002
	v_mfma_i32_16x16x32_i8 v[80:83], a[134:135], v[214:215], v[80:83]// 000000008244: D3D70050 0D43AD86
	v_mfma_i32_16x16x32_i8 v[80:83], a[136:137], v[216:217], v[80:83]// 00000000824C: D3D70050 0D43B188
	buffer_load_dwordx4 a[36:39], v36, s[24:27], 0 offen offset:1024// 000000008254: E05C1400 80862424
	v_mfma_i32_16x16x32_i8 v[80:83], a[138:139], v[218:219], v[80:83]// 00000000825C: D3D70050 0D43B58A
	v_mfma_i32_16x16x32_i8 v[80:83], a[140:141], v[220:221], v[80:83]// 000000008264: D3D70050 0D43B98C
	ds_read_b128 v[180:183], v2 offset:64                      // 00000000826C: D9FE0040 B4000002
	v_mfma_i32_16x16x32_i8 v[80:83], a[142:143], v[222:223], v[80:83]// 000000008274: D3D70050 0D43BD8E
	v_mfma_i32_16x16x32_i8 v[84:87], a[128:129], v[224:225], v[84:87]// 00000000827C: D3D70054 0D53C180
	buffer_load_dwordx4 a[40:43], v36, s[24:27], 0 offen offset:2048// 000000008284: E05C1800 80862824
	v_mfma_i32_16x16x32_i8 v[84:87], a[130:131], v[226:227], v[84:87]// 00000000828C: D3D70054 0D53C582
	v_mfma_i32_16x16x32_i8 v[84:87], a[132:133], v[228:229], v[84:87]// 000000008294: D3D70054 0D53C984
	ds_read_b128 v[184:187], v2 offset:128                     // 00000000829C: D9FE0080 B8000002
	v_mfma_i32_16x16x32_i8 v[84:87], a[134:135], v[230:231], v[84:87]// 0000000082A4: D3D70054 0D53CD86
	v_mfma_i32_16x16x32_i8 v[84:87], a[136:137], v[232:233], v[84:87]// 0000000082AC: D3D70054 0D53D188
	buffer_load_dwordx4 a[44:47], v36, s[24:27], 0 offen offset:3072// 0000000082B4: E05C1C00 80862C24
	v_mfma_i32_16x16x32_i8 v[84:87], a[138:139], v[234:235], v[84:87]// 0000000082BC: D3D70054 0D53D58A
	v_mfma_i32_16x16x32_i8 v[84:87], a[140:141], v[236:237], v[84:87]// 0000000082C4: D3D70054 0D53D98C
	ds_read_b128 v[188:191], v2 offset:192                     // 0000000082CC: D9FE00C0 BC000002
	v_mfma_i32_16x16x32_i8 v[84:87], a[142:143], v[238:239], v[84:87]// 0000000082D4: D3D70054 0D53DD8E
	s_waitcnt vmcnt(20)                                        // 0000000082DC: BF8C4F74
	v_mfma_i32_16x16x32_i8 v[88:91], a[144:145], v[208:209], v[88:91]// 0000000082E0: D3D70058 0D63A190
	buffer_load_dwordx4 a[48:51], v37, s[24:27], 0 offen       // 0000000082E8: E05C1000 80863025
	v_mfma_i32_16x16x32_i8 v[88:91], a[146:147], v[210:211], v[88:91]// 0000000082F0: D3D70058 0D63A592
	v_mfma_i32_16x16x32_i8 v[88:91], a[148:149], v[212:213], v[88:91]// 0000000082F8: D3D70058 0D63A994
	ds_read_b128 v[192:195], v2 offset:1024                    // 000000008300: D9FE0400 C0000002
	v_mfma_i32_16x16x32_i8 v[88:91], a[150:151], v[214:215], v[88:91]// 000000008308: D3D70058 0D63AD96
	v_mfma_i32_16x16x32_i8 v[88:91], a[152:153], v[216:217], v[88:91]// 000000008310: D3D70058 0D63B198
	buffer_load_dwordx4 a[52:55], v37, s[24:27], 0 offen offset:1024// 000000008318: E05C1400 80863425
	v_mfma_i32_16x16x32_i8 v[88:91], a[154:155], v[218:219], v[88:91]// 000000008320: D3D70058 0D63B59A
	v_mfma_i32_16x16x32_i8 v[88:91], a[156:157], v[220:221], v[88:91]// 000000008328: D3D70058 0D63B99C
	ds_read_b128 v[196:199], v2 offset:1088                    // 000000008330: D9FE0440 C4000002
	v_mfma_i32_16x16x32_i8 v[88:91], a[158:159], v[222:223], v[88:91]// 000000008338: D3D70058 0D63BD9E
	v_mfma_i32_16x16x32_i8 v[92:95], a[144:145], v[224:225], v[92:95]// 000000008340: D3D7005C 0D73C190
	buffer_load_dwordx4 a[56:59], v37, s[24:27], 0 offen offset:2048// 000000008348: E05C1800 80863825
	v_mfma_i32_16x16x32_i8 v[92:95], a[146:147], v[226:227], v[92:95]// 000000008350: D3D7005C 0D73C592
	v_mfma_i32_16x16x32_i8 v[92:95], a[148:149], v[228:229], v[92:95]// 000000008358: D3D7005C 0D73C994
	ds_read_b128 v[200:203], v2 offset:1152                    // 000000008360: D9FE0480 C8000002
	v_mfma_i32_16x16x32_i8 v[92:95], a[150:151], v[230:231], v[92:95]// 000000008368: D3D7005C 0D73CD96
	v_mfma_i32_16x16x32_i8 v[92:95], a[152:153], v[232:233], v[92:95]// 000000008370: D3D7005C 0D73D198
	buffer_load_dwordx4 a[60:63], v37, s[24:27], 0 offen offset:3072// 000000008378: E05C1C00 80863C25
	v_mfma_i32_16x16x32_i8 v[92:95], a[154:155], v[234:235], v[92:95]// 000000008380: D3D7005C 0D73D59A
	v_mfma_i32_16x16x32_i8 v[92:95], a[156:157], v[236:237], v[92:95]// 000000008388: D3D7005C 0D73D99C
	ds_read_b128 v[204:207], v2 offset:1216                    // 000000008390: D9FE04C0 CC000002
	v_mfma_i32_16x16x32_i8 v[92:95], a[158:159], v[238:239], v[92:95]// 000000008398: D3D7005C 0D73DD9E
	s_waitcnt vmcnt(20)                                        // 0000000083A0: BF8C4F74
	v_mfma_i32_16x16x32_i8 v[96:99], a[160:161], v[208:209], v[96:99]// 0000000083A4: D3D70060 0D83A1A0
	buffer_load_dwordx4 a[64:67], v38, s[24:27], 0 offen       // 0000000083AC: E05C1000 80864026
	v_mfma_i32_16x16x32_i8 v[96:99], a[162:163], v[210:211], v[96:99]// 0000000083B4: D3D70060 0D83A5A2
	v_mfma_i32_16x16x32_i8 v[96:99], a[164:165], v[212:213], v[96:99]// 0000000083BC: D3D70060 0D83A9A4
	v_mfma_i32_16x16x32_i8 v[96:99], a[166:167], v[214:215], v[96:99]// 0000000083C4: D3D70060 0D83ADA6
	v_mfma_i32_16x16x32_i8 v[96:99], a[168:169], v[216:217], v[96:99]// 0000000083CC: D3D70060 0D83B1A8
	buffer_load_dwordx4 a[68:71], v38, s[24:27], 0 offen offset:1024// 0000000083D4: E05C1400 80864426
	v_mfma_i32_16x16x32_i8 v[96:99], a[170:171], v[218:219], v[96:99]// 0000000083DC: D3D70060 0D83B5AA
	v_mfma_i32_16x16x32_i8 v[96:99], a[172:173], v[220:221], v[96:99]// 0000000083E4: D3D70060 0D83B9AC
	v_mfma_i32_16x16x32_i8 v[96:99], a[174:175], v[222:223], v[96:99]// 0000000083EC: D3D70060 0D83BDAE
	v_mfma_i32_16x16x32_i8 v[100:103], a[160:161], v[224:225], v[100:103]// 0000000083F4: D3D70064 0D93C1A0
	buffer_load_dwordx4 a[72:75], v38, s[24:27], 0 offen offset:2048// 0000000083FC: E05C1800 80864826
	v_mfma_i32_16x16x32_i8 v[100:103], a[162:163], v[226:227], v[100:103]// 000000008404: D3D70064 0D93C5A2
	v_mfma_i32_16x16x32_i8 v[100:103], a[164:165], v[228:229], v[100:103]// 00000000840C: D3D70064 0D93C9A4
	v_mfma_i32_16x16x32_i8 v[100:103], a[166:167], v[230:231], v[100:103]// 000000008414: D3D70064 0D93CDA6
	v_mfma_i32_16x16x32_i8 v[100:103], a[168:169], v[232:233], v[100:103]// 00000000841C: D3D70064 0D93D1A8
	buffer_load_dwordx4 a[76:79], v38, s[24:27], 0 offen offset:3072// 000000008424: E05C1C00 80864C26
	v_mfma_i32_16x16x32_i8 v[100:103], a[170:171], v[234:235], v[100:103]// 00000000842C: D3D70064 0D93D5AA
	v_mfma_i32_16x16x32_i8 v[100:103], a[172:173], v[236:237], v[100:103]// 000000008434: D3D70064 0D93D9AC
	v_mfma_i32_16x16x32_i8 v[100:103], a[174:175], v[238:239], v[100:103]// 00000000843C: D3D70064 0D93DDAE
	s_waitcnt vmcnt(20)                                        // 000000008444: BF8C4F74
	v_mfma_i32_16x16x32_i8 v[104:107], a[176:177], v[208:209], v[104:107]// 000000008448: D3D70068 0DA3A1B0
	buffer_load_dwordx4 a[80:83], v39, s[24:27], 0 offen       // 000000008450: E05C1000 80865027
	v_mfma_i32_16x16x32_i8 v[104:107], a[178:179], v[210:211], v[104:107]// 000000008458: D3D70068 0DA3A5B2
	v_mfma_i32_16x16x32_i8 v[104:107], a[180:181], v[212:213], v[104:107]// 000000008460: D3D70068 0DA3A9B4
	v_mfma_i32_16x16x32_i8 v[104:107], a[182:183], v[214:215], v[104:107]// 000000008468: D3D70068 0DA3ADB6
	v_mfma_i32_16x16x32_i8 v[104:107], a[184:185], v[216:217], v[104:107]// 000000008470: D3D70068 0DA3B1B8
	buffer_load_dwordx4 a[84:87], v39, s[24:27], 0 offen offset:1024// 000000008478: E05C1400 80865427
	v_mfma_i32_16x16x32_i8 v[104:107], a[186:187], v[218:219], v[104:107]// 000000008480: D3D70068 0DA3B5BA
	v_mfma_i32_16x16x32_i8 v[104:107], a[188:189], v[220:221], v[104:107]// 000000008488: D3D70068 0DA3B9BC
	v_mfma_i32_16x16x32_i8 v[104:107], a[190:191], v[222:223], v[104:107]// 000000008490: D3D70068 0DA3BDBE
	v_mfma_i32_16x16x32_i8 v[108:111], a[176:177], v[224:225], v[108:111]// 000000008498: D3D7006C 0DB3C1B0
	buffer_load_dwordx4 a[88:91], v39, s[24:27], 0 offen offset:2048// 0000000084A0: E05C1800 80865827
	v_mfma_i32_16x16x32_i8 v[108:111], a[178:179], v[226:227], v[108:111]// 0000000084A8: D3D7006C 0DB3C5B2
	v_mfma_i32_16x16x32_i8 v[108:111], a[180:181], v[228:229], v[108:111]// 0000000084B0: D3D7006C 0DB3C9B4
	v_mfma_i32_16x16x32_i8 v[108:111], a[182:183], v[230:231], v[108:111]// 0000000084B8: D3D7006C 0DB3CDB6
	v_mfma_i32_16x16x32_i8 v[108:111], a[184:185], v[232:233], v[108:111]// 0000000084C0: D3D7006C 0DB3D1B8
	buffer_load_dwordx4 a[92:95], v39, s[24:27], 0 offen offset:3072// 0000000084C8: E05C1C00 80865C27
	v_mfma_i32_16x16x32_i8 v[108:111], a[186:187], v[234:235], v[108:111]// 0000000084D0: D3D7006C 0DB3D5BA
	v_mfma_i32_16x16x32_i8 v[108:111], a[188:189], v[236:237], v[108:111]// 0000000084D8: D3D7006C 0DB3D9BC
	v_mfma_i32_16x16x32_i8 v[108:111], a[190:191], v[238:239], v[108:111]// 0000000084E0: D3D7006C 0DB3DDBE
	s_add_u32 s60, 0x200, s80                                  // 0000000084E8: 803C50FF 00000200
	s_cmp_lt_u32 s60, s81                                      // 0000000084F0: BF0A513C
	s_cselect_b32 s57, s57, 0                                  // 0000000084F4: 85398039
	s_add_u32 s60, 0x200, s80                                  // 0000000084F8: 803C50FF 00000200
	s_cmp_lt_u32 s60, s81                                      // 000000008500: BF0A513C
	s_cselect_b32 s58, s58, 0                                  // 000000008504: 853A803A
	s_add_u32 s20, s57, s20                                    // 000000008508: 80141439
	s_addc_u32 s21, 0, s21                                     // 00000000850C: 82151580
	s_add_u32 s24, s58, s24                                    // 000000008510: 8018183A
	s_addc_u32 s25, 0, s25                                     // 000000008514: 82191980
	s_add_u32 s92, s90, s92                                    // 000000008518: 805C5C5A
	s_addc_u32 s93, 0, s93                                     // 00000000851C: 825D5D80
	s_addk_i32 s80, 0x100                                      // 000000008520: B7500100
	s_cmp_lt_i32 s80, s81                                      // 000000008524: BF045150
	s_cbranch_scc0 label_15CC                                  // 000000008528: BF840001
	s_branch label_1173                                        // 00000000852C: BF82FBA7

0000000000008530 <label_15CC>:
	s_mov_b32 s36, -1                                          // 000000008530: BEA400C1
	s_mov_b32 s37, -1                                          // 000000008534: BEA500C1
	s_mov_b64 s[60:61], 0                                      // 000000008538: BEBC0180
	s_cmp_lt_u32 s82, s66                                      // 00000000853C: BF0A4252
	s_cselect_b64 s[20:21], s[36:37], s[60:61]                 // 000000008540: 85943C24
	s_cmp_lt_u32 s83, s66                                      // 000000008544: BF0A4253
	s_cselect_b64 s[22:23], s[36:37], s[60:61]                 // 000000008548: 85963C24
	s_cmp_lt_u32 s84, s66                                      // 00000000854C: BF0A4254
	s_cselect_b64 s[24:25], s[36:37], s[60:61]                 // 000000008550: 85983C24
	s_cmp_lt_u32 s85, s66                                      // 000000008554: BF0A4255
	s_cselect_b64 s[26:27], s[36:37], s[60:61]                 // 000000008558: 859A3C24
	s_cmp_lt_u32 s86, s66                                      // 00000000855C: BF0A4256
	s_cselect_b64 s[28:29], s[36:37], s[60:61]                 // 000000008560: 859C3C24
	s_cmp_lt_u32 s87, s66                                      // 000000008564: BF0A4257
	s_cselect_b64 s[30:31], s[36:37], s[60:61]                 // 000000008568: 859E3C24
	s_cmp_lt_u32 s88, s66                                      // 00000000856C: BF0A4258
	s_cselect_b64 s[32:33], s[36:37], s[60:61]                 // 000000008570: 85A03C24
	s_cmp_lt_u32 s89, s66                                      // 000000008574: BF0A4259
	s_cselect_b64 s[34:35], s[36:37], s[60:61]                 // 000000008578: 85A23C24
	v_cvt_f32_i32_e32 v128, v128                               // 00000000857C: 7F000B80
	v_cvt_f32_i32_e32 v129, v129                               // 000000008580: 7F020B81
	v_cvt_f32_i32_e32 v130, v130                               // 000000008584: 7F040B82
	v_cvt_f32_i32_e32 v131, v131                               // 000000008588: 7F060B83
	v_mul_f32_e32 v128, v14, v128                              // 00000000858C: 0B01010E
	v_mul_f32_e32 v129, v14, v129                              // 000000008590: 0B03030E
	v_mul_f32_e32 v130, v14, v130                              // 000000008594: 0B05050E
	v_mul_f32_e32 v131, v14, v131                              // 000000008598: 0B07070E
	v_mul_f32_dpp v128, v16, v128 row_newbcast:0 row_mask:0xf bank_mask:0xf// 00000000859C: 0B0100FA FF015010
	v_mul_f32_dpp v129, v16, v129 row_newbcast:1 row_mask:0xf bank_mask:0xf// 0000000085A4: 0B0302FA FF015110
	v_mul_f32_dpp v130, v16, v130 row_newbcast:2 row_mask:0xf bank_mask:0xf// 0000000085AC: 0B0504FA FF015210
	v_mul_f32_dpp v131, v16, v131 row_newbcast:3 row_mask:0xf bank_mask:0xf// 0000000085B4: 0B0706FA FF015310
	v_cvt_f32_i32_e32 v132, v132                               // 0000000085BC: 7F080B84
	v_cvt_f32_i32_e32 v133, v133                               // 0000000085C0: 7F0A0B85
	v_cvt_f32_i32_e32 v134, v134                               // 0000000085C4: 7F0C0B86
	v_cvt_f32_i32_e32 v135, v135                               // 0000000085C8: 7F0E0B87
	v_mul_f32_e32 v132, v15, v132                              // 0000000085CC: 0B09090F
	v_mul_f32_e32 v133, v15, v133                              // 0000000085D0: 0B0B0B0F
	v_mul_f32_e32 v134, v15, v134                              // 0000000085D4: 0B0D0D0F
	v_mul_f32_e32 v135, v15, v135                              // 0000000085D8: 0B0F0F0F
	v_mul_f32_dpp v132, v16, v132 row_newbcast:0 row_mask:0xf bank_mask:0xf// 0000000085DC: 0B0908FA FF015010
	v_mul_f32_dpp v133, v16, v133 row_newbcast:1 row_mask:0xf bank_mask:0xf// 0000000085E4: 0B0B0AFA FF015110
	v_mul_f32_dpp v134, v16, v134 row_newbcast:2 row_mask:0xf bank_mask:0xf// 0000000085EC: 0B0D0CFA FF015210
	v_mul_f32_dpp v135, v16, v135 row_newbcast:3 row_mask:0xf bank_mask:0xf// 0000000085F4: 0B0F0EFA FF015310
	v_cvt_f32_i32_e32 v136, v136                               // 0000000085FC: 7F100B88
	v_cvt_f32_i32_e32 v137, v137                               // 000000008600: 7F120B89
	v_cvt_f32_i32_e32 v138, v138                               // 000000008604: 7F140B8A
	v_cvt_f32_i32_e32 v139, v139                               // 000000008608: 7F160B8B
	v_mul_f32_e32 v136, v14, v136                              // 00000000860C: 0B11110E
	v_mul_f32_e32 v137, v14, v137                              // 000000008610: 0B13130E
	v_mul_f32_e32 v138, v14, v138                              // 000000008614: 0B15150E
	v_mul_f32_e32 v139, v14, v139                              // 000000008618: 0B17170E
	v_mul_f32_dpp v136, v16, v136 row_newbcast:4 row_mask:0xf bank_mask:0xf// 00000000861C: 0B1110FA FF015410
	v_mul_f32_dpp v137, v16, v137 row_newbcast:5 row_mask:0xf bank_mask:0xf// 000000008624: 0B1312FA FF015510
	v_mul_f32_dpp v138, v16, v138 row_newbcast:6 row_mask:0xf bank_mask:0xf// 00000000862C: 0B1514FA FF015610
	v_mul_f32_dpp v139, v16, v139 row_newbcast:7 row_mask:0xf bank_mask:0xf// 000000008634: 0B1716FA FF015710
	v_cvt_f32_i32_e32 v140, v140                               // 00000000863C: 7F180B8C
	v_cvt_f32_i32_e32 v141, v141                               // 000000008640: 7F1A0B8D
	v_cvt_f32_i32_e32 v142, v142                               // 000000008644: 7F1C0B8E
	v_cvt_f32_i32_e32 v143, v143                               // 000000008648: 7F1E0B8F
	v_mul_f32_e32 v140, v15, v140                              // 00000000864C: 0B19190F
	v_mul_f32_e32 v141, v15, v141                              // 000000008650: 0B1B1B0F
	v_mul_f32_e32 v142, v15, v142                              // 000000008654: 0B1D1D0F
	v_mul_f32_e32 v143, v15, v143                              // 000000008658: 0B1F1F0F
	v_mul_f32_dpp v140, v16, v140 row_newbcast:4 row_mask:0xf bank_mask:0xf// 00000000865C: 0B1918FA FF015410
	v_mul_f32_dpp v141, v16, v141 row_newbcast:5 row_mask:0xf bank_mask:0xf// 000000008664: 0B1B1AFA FF015510
	v_mul_f32_dpp v142, v16, v142 row_newbcast:6 row_mask:0xf bank_mask:0xf// 00000000866C: 0B1D1CFA FF015610
	v_mul_f32_dpp v143, v16, v143 row_newbcast:7 row_mask:0xf bank_mask:0xf// 000000008674: 0B1F1EFA FF015710
	v_cvt_f32_i32_e32 v144, v144                               // 00000000867C: 7F200B90
	v_cvt_f32_i32_e32 v145, v145                               // 000000008680: 7F220B91
	v_cvt_f32_i32_e32 v146, v146                               // 000000008684: 7F240B92
	v_cvt_f32_i32_e32 v147, v147                               // 000000008688: 7F260B93
	v_mul_f32_e32 v144, v14, v144                              // 00000000868C: 0B21210E
	v_mul_f32_e32 v145, v14, v145                              // 000000008690: 0B23230E
	v_mul_f32_e32 v146, v14, v146                              // 000000008694: 0B25250E
	v_mul_f32_e32 v147, v14, v147                              // 000000008698: 0B27270E
	v_mul_f32_dpp v144, v16, v144 row_newbcast:8 row_mask:0xf bank_mask:0xf// 00000000869C: 0B2120FA FF015810
	v_mul_f32_dpp v145, v16, v145 row_newbcast:9 row_mask:0xf bank_mask:0xf// 0000000086A4: 0B2322FA FF015910
	v_mul_f32_dpp v146, v16, v146 row_newbcast:10 row_mask:0xf bank_mask:0xf// 0000000086AC: 0B2524FA FF015A10
	v_mul_f32_dpp v147, v16, v147 row_newbcast:11 row_mask:0xf bank_mask:0xf// 0000000086B4: 0B2726FA FF015B10
	v_cvt_f32_i32_e32 v148, v148                               // 0000000086BC: 7F280B94
	v_cvt_f32_i32_e32 v149, v149                               // 0000000086C0: 7F2A0B95
	v_cvt_f32_i32_e32 v150, v150                               // 0000000086C4: 7F2C0B96
	v_cvt_f32_i32_e32 v151, v151                               // 0000000086C8: 7F2E0B97
	v_mul_f32_e32 v148, v15, v148                              // 0000000086CC: 0B29290F
	v_mul_f32_e32 v149, v15, v149                              // 0000000086D0: 0B2B2B0F
	v_mul_f32_e32 v150, v15, v150                              // 0000000086D4: 0B2D2D0F
	v_mul_f32_e32 v151, v15, v151                              // 0000000086D8: 0B2F2F0F
	v_mul_f32_dpp v148, v16, v148 row_newbcast:8 row_mask:0xf bank_mask:0xf// 0000000086DC: 0B2928FA FF015810
	v_mul_f32_dpp v149, v16, v149 row_newbcast:9 row_mask:0xf bank_mask:0xf// 0000000086E4: 0B2B2AFA FF015910
	v_mul_f32_dpp v150, v16, v150 row_newbcast:10 row_mask:0xf bank_mask:0xf// 0000000086EC: 0B2D2CFA FF015A10
	v_mul_f32_dpp v151, v16, v151 row_newbcast:11 row_mask:0xf bank_mask:0xf// 0000000086F4: 0B2F2EFA FF015B10
	v_cvt_f32_i32_e32 v152, v152                               // 0000000086FC: 7F300B98
	v_cvt_f32_i32_e32 v153, v153                               // 000000008700: 7F320B99
	v_cvt_f32_i32_e32 v154, v154                               // 000000008704: 7F340B9A
	v_cvt_f32_i32_e32 v155, v155                               // 000000008708: 7F360B9B
	v_mul_f32_e32 v152, v14, v152                              // 00000000870C: 0B31310E
	v_mul_f32_e32 v153, v14, v153                              // 000000008710: 0B33330E
	v_mul_f32_e32 v154, v14, v154                              // 000000008714: 0B35350E
	v_mul_f32_e32 v155, v14, v155                              // 000000008718: 0B37370E
	v_mul_f32_dpp v152, v16, v152 row_newbcast:12 row_mask:0xf bank_mask:0xf// 00000000871C: 0B3130FA FF015C10
	v_mul_f32_dpp v153, v16, v153 row_newbcast:13 row_mask:0xf bank_mask:0xf// 000000008724: 0B3332FA FF015D10
	v_mul_f32_dpp v154, v16, v154 row_newbcast:14 row_mask:0xf bank_mask:0xf// 00000000872C: 0B3534FA FF015E10
	v_mul_f32_dpp v155, v16, v155 row_newbcast:15 row_mask:0xf bank_mask:0xf// 000000008734: 0B3736FA FF015F10
	v_cvt_f32_i32_e32 v156, v156                               // 00000000873C: 7F380B9C
	v_cvt_f32_i32_e32 v157, v157                               // 000000008740: 7F3A0B9D
	v_cvt_f32_i32_e32 v158, v158                               // 000000008744: 7F3C0B9E
	v_cvt_f32_i32_e32 v159, v159                               // 000000008748: 7F3E0B9F
	v_mul_f32_e32 v156, v15, v156                              // 00000000874C: 0B39390F
	v_mul_f32_e32 v157, v15, v157                              // 000000008750: 0B3B3B0F
	v_mul_f32_e32 v158, v15, v158                              // 000000008754: 0B3D3D0F
	v_mul_f32_e32 v159, v15, v159                              // 000000008758: 0B3F3F0F
	v_mul_f32_dpp v156, v16, v156 row_newbcast:12 row_mask:0xf bank_mask:0xf// 00000000875C: 0B3938FA FF015C10
	v_mul_f32_dpp v157, v16, v157 row_newbcast:13 row_mask:0xf bank_mask:0xf// 000000008764: 0B3B3AFA FF015D10
	v_mul_f32_dpp v158, v16, v158 row_newbcast:14 row_mask:0xf bank_mask:0xf// 00000000876C: 0B3D3CFA FF015E10
	v_mul_f32_dpp v159, v16, v159 row_newbcast:15 row_mask:0xf bank_mask:0xf// 000000008774: 0B3F3EFA FF015F10
	v_cvt_f32_i32_e32 v160, v160                               // 00000000877C: 7F400BA0
	v_cvt_f32_i32_e32 v161, v161                               // 000000008780: 7F420BA1
	v_cvt_f32_i32_e32 v162, v162                               // 000000008784: 7F440BA2
	v_cvt_f32_i32_e32 v163, v163                               // 000000008788: 7F460BA3
	v_mul_f32_e32 v160, v14, v160                              // 00000000878C: 0B41410E
	v_mul_f32_e32 v161, v14, v161                              // 000000008790: 0B43430E
	v_mul_f32_e32 v162, v14, v162                              // 000000008794: 0B45450E
	v_mul_f32_e32 v163, v14, v163                              // 000000008798: 0B47470E
	v_mul_f32_dpp v160, v17, v160 row_newbcast:0 row_mask:0xf bank_mask:0xf// 00000000879C: 0B4140FA FF015011
	v_mul_f32_dpp v161, v17, v161 row_newbcast:1 row_mask:0xf bank_mask:0xf// 0000000087A4: 0B4342FA FF015111
	v_mul_f32_dpp v162, v17, v162 row_newbcast:2 row_mask:0xf bank_mask:0xf// 0000000087AC: 0B4544FA FF015211
	v_mul_f32_dpp v163, v17, v163 row_newbcast:3 row_mask:0xf bank_mask:0xf// 0000000087B4: 0B4746FA FF015311
	v_cvt_f32_i32_e32 v164, v164                               // 0000000087BC: 7F480BA4
	v_cvt_f32_i32_e32 v165, v165                               // 0000000087C0: 7F4A0BA5
	v_cvt_f32_i32_e32 v166, v166                               // 0000000087C4: 7F4C0BA6
	v_cvt_f32_i32_e32 v167, v167                               // 0000000087C8: 7F4E0BA7
	v_mul_f32_e32 v164, v15, v164                              // 0000000087CC: 0B49490F
	v_mul_f32_e32 v165, v15, v165                              // 0000000087D0: 0B4B4B0F
	v_mul_f32_e32 v166, v15, v166                              // 0000000087D4: 0B4D4D0F
	v_mul_f32_e32 v167, v15, v167                              // 0000000087D8: 0B4F4F0F
	v_mul_f32_dpp v164, v17, v164 row_newbcast:0 row_mask:0xf bank_mask:0xf// 0000000087DC: 0B4948FA FF015011
	v_mul_f32_dpp v165, v17, v165 row_newbcast:1 row_mask:0xf bank_mask:0xf// 0000000087E4: 0B4B4AFA FF015111
	v_mul_f32_dpp v166, v17, v166 row_newbcast:2 row_mask:0xf bank_mask:0xf// 0000000087EC: 0B4D4CFA FF015211
	v_mul_f32_dpp v167, v17, v167 row_newbcast:3 row_mask:0xf bank_mask:0xf// 0000000087F4: 0B4F4EFA FF015311
	v_cvt_f32_i32_e32 v168, v168                               // 0000000087FC: 7F500BA8
	v_cvt_f32_i32_e32 v169, v169                               // 000000008800: 7F520BA9
	v_cvt_f32_i32_e32 v170, v170                               // 000000008804: 7F540BAA
	v_cvt_f32_i32_e32 v171, v171                               // 000000008808: 7F560BAB
	v_mul_f32_e32 v168, v14, v168                              // 00000000880C: 0B51510E
	v_mul_f32_e32 v169, v14, v169                              // 000000008810: 0B53530E
	v_mul_f32_e32 v170, v14, v170                              // 000000008814: 0B55550E
	v_mul_f32_e32 v171, v14, v171                              // 000000008818: 0B57570E
	v_mul_f32_dpp v168, v17, v168 row_newbcast:4 row_mask:0xf bank_mask:0xf// 00000000881C: 0B5150FA FF015411
	v_mul_f32_dpp v169, v17, v169 row_newbcast:5 row_mask:0xf bank_mask:0xf// 000000008824: 0B5352FA FF015511
	v_mul_f32_dpp v170, v17, v170 row_newbcast:6 row_mask:0xf bank_mask:0xf// 00000000882C: 0B5554FA FF015611
	v_mul_f32_dpp v171, v17, v171 row_newbcast:7 row_mask:0xf bank_mask:0xf// 000000008834: 0B5756FA FF015711
	v_cvt_f32_i32_e32 v172, v172                               // 00000000883C: 7F580BAC
	v_cvt_f32_i32_e32 v173, v173                               // 000000008840: 7F5A0BAD
	v_cvt_f32_i32_e32 v174, v174                               // 000000008844: 7F5C0BAE
	v_cvt_f32_i32_e32 v175, v175                               // 000000008848: 7F5E0BAF
	v_mul_f32_e32 v172, v15, v172                              // 00000000884C: 0B59590F
	v_mul_f32_e32 v173, v15, v173                              // 000000008850: 0B5B5B0F
	v_mul_f32_e32 v174, v15, v174                              // 000000008854: 0B5D5D0F
	v_mul_f32_e32 v175, v15, v175                              // 000000008858: 0B5F5F0F
	v_mul_f32_dpp v172, v17, v172 row_newbcast:4 row_mask:0xf bank_mask:0xf// 00000000885C: 0B5958FA FF015411
	v_mul_f32_dpp v173, v17, v173 row_newbcast:5 row_mask:0xf bank_mask:0xf// 000000008864: 0B5B5AFA FF015511
	v_mul_f32_dpp v174, v17, v174 row_newbcast:6 row_mask:0xf bank_mask:0xf// 00000000886C: 0B5D5CFA FF015611
	v_mul_f32_dpp v175, v17, v175 row_newbcast:7 row_mask:0xf bank_mask:0xf// 000000008874: 0B5F5EFA FF015711
	v_cvt_f32_i32_e32 v64, v64                                 // 00000000887C: 7E800B40
	v_cvt_f32_i32_e32 v65, v65                                 // 000000008880: 7E820B41
	v_cvt_f32_i32_e32 v66, v66                                 // 000000008884: 7E840B42
	v_cvt_f32_i32_e32 v67, v67                                 // 000000008888: 7E860B43
	v_mul_f32_e32 v64, v14, v64                                // 00000000888C: 0A80810E
	v_mul_f32_e32 v65, v14, v65                                // 000000008890: 0A82830E
	v_mul_f32_e32 v66, v14, v66                                // 000000008894: 0A84850E
	v_mul_f32_e32 v67, v14, v67                                // 000000008898: 0A86870E
	v_mul_f32_dpp v64, v48, v64 row_newbcast:0 row_mask:0xf bank_mask:0xf// 00000000889C: 0A8080FA FF015030
	v_mul_f32_dpp v65, v48, v65 row_newbcast:1 row_mask:0xf bank_mask:0xf// 0000000088A4: 0A8282FA FF015130
	v_mul_f32_dpp v66, v48, v66 row_newbcast:2 row_mask:0xf bank_mask:0xf// 0000000088AC: 0A8484FA FF015230
	v_mul_f32_dpp v67, v48, v67 row_newbcast:3 row_mask:0xf bank_mask:0xf// 0000000088B4: 0A8686FA FF015330
	v_cvt_f32_i32_e32 v68, v68                                 // 0000000088BC: 7E880B44
	v_cvt_f32_i32_e32 v69, v69                                 // 0000000088C0: 7E8A0B45
	v_cvt_f32_i32_e32 v70, v70                                 // 0000000088C4: 7E8C0B46
	v_cvt_f32_i32_e32 v71, v71                                 // 0000000088C8: 7E8E0B47
	v_mul_f32_e32 v68, v15, v68                                // 0000000088CC: 0A88890F
	v_mul_f32_e32 v69, v15, v69                                // 0000000088D0: 0A8A8B0F
	v_mul_f32_e32 v70, v15, v70                                // 0000000088D4: 0A8C8D0F
	v_mul_f32_e32 v71, v15, v71                                // 0000000088D8: 0A8E8F0F
	v_mul_f32_dpp v68, v48, v68 row_newbcast:0 row_mask:0xf bank_mask:0xf// 0000000088DC: 0A8888FA FF015030
	v_mul_f32_dpp v69, v48, v69 row_newbcast:1 row_mask:0xf bank_mask:0xf// 0000000088E4: 0A8A8AFA FF015130
	v_mul_f32_dpp v70, v48, v70 row_newbcast:2 row_mask:0xf bank_mask:0xf// 0000000088EC: 0A8C8CFA FF015230
	v_mul_f32_dpp v71, v48, v71 row_newbcast:3 row_mask:0xf bank_mask:0xf// 0000000088F4: 0A8E8EFA FF015330
	v_cvt_f32_i32_e32 v72, v72                                 // 0000000088FC: 7E900B48
	v_cvt_f32_i32_e32 v73, v73                                 // 000000008900: 7E920B49
	v_cvt_f32_i32_e32 v74, v74                                 // 000000008904: 7E940B4A
	v_cvt_f32_i32_e32 v75, v75                                 // 000000008908: 7E960B4B
	v_mul_f32_e32 v72, v14, v72                                // 00000000890C: 0A90910E
	v_mul_f32_e32 v73, v14, v73                                // 000000008910: 0A92930E
	v_mul_f32_e32 v74, v14, v74                                // 000000008914: 0A94950E
	v_mul_f32_e32 v75, v14, v75                                // 000000008918: 0A96970E
	v_mul_f32_dpp v72, v48, v72 row_newbcast:4 row_mask:0xf bank_mask:0xf// 00000000891C: 0A9090FA FF015430
	v_mul_f32_dpp v73, v48, v73 row_newbcast:5 row_mask:0xf bank_mask:0xf// 000000008924: 0A9292FA FF015530
	v_mul_f32_dpp v74, v48, v74 row_newbcast:6 row_mask:0xf bank_mask:0xf// 00000000892C: 0A9494FA FF015630
	v_mul_f32_dpp v75, v48, v75 row_newbcast:7 row_mask:0xf bank_mask:0xf// 000000008934: 0A9696FA FF015730
	v_cvt_f32_i32_e32 v76, v76                                 // 00000000893C: 7E980B4C
	v_cvt_f32_i32_e32 v77, v77                                 // 000000008940: 7E9A0B4D
	v_cvt_f32_i32_e32 v78, v78                                 // 000000008944: 7E9C0B4E
	v_cvt_f32_i32_e32 v79, v79                                 // 000000008948: 7E9E0B4F
	v_mul_f32_e32 v76, v15, v76                                // 00000000894C: 0A98990F
	v_mul_f32_e32 v77, v15, v77                                // 000000008950: 0A9A9B0F
	v_mul_f32_e32 v78, v15, v78                                // 000000008954: 0A9C9D0F
	v_mul_f32_e32 v79, v15, v79                                // 000000008958: 0A9E9F0F
	v_mul_f32_dpp v76, v48, v76 row_newbcast:4 row_mask:0xf bank_mask:0xf// 00000000895C: 0A9898FA FF015430
	v_mul_f32_dpp v77, v48, v77 row_newbcast:5 row_mask:0xf bank_mask:0xf// 000000008964: 0A9A9AFA FF015530
	v_mul_f32_dpp v78, v48, v78 row_newbcast:6 row_mask:0xf bank_mask:0xf// 00000000896C: 0A9C9CFA FF015630
	v_mul_f32_dpp v79, v48, v79 row_newbcast:7 row_mask:0xf bank_mask:0xf// 000000008974: 0A9E9EFA FF015730
	v_cvt_f32_i32_e32 v80, v80                                 // 00000000897C: 7EA00B50
	v_cvt_f32_i32_e32 v81, v81                                 // 000000008980: 7EA20B51
	v_cvt_f32_i32_e32 v82, v82                                 // 000000008984: 7EA40B52
	v_cvt_f32_i32_e32 v83, v83                                 // 000000008988: 7EA60B53
	v_mul_f32_e32 v80, v14, v80                                // 00000000898C: 0AA0A10E
	v_mul_f32_e32 v81, v14, v81                                // 000000008990: 0AA2A30E
	v_mul_f32_e32 v82, v14, v82                                // 000000008994: 0AA4A50E
	v_mul_f32_e32 v83, v14, v83                                // 000000008998: 0AA6A70E
	v_mul_f32_dpp v80, v48, v80 row_newbcast:8 row_mask:0xf bank_mask:0xf// 00000000899C: 0AA0A0FA FF015830
	v_mul_f32_dpp v81, v48, v81 row_newbcast:9 row_mask:0xf bank_mask:0xf// 0000000089A4: 0AA2A2FA FF015930
	v_mul_f32_dpp v82, v48, v82 row_newbcast:10 row_mask:0xf bank_mask:0xf// 0000000089AC: 0AA4A4FA FF015A30
	v_mul_f32_dpp v83, v48, v83 row_newbcast:11 row_mask:0xf bank_mask:0xf// 0000000089B4: 0AA6A6FA FF015B30
	v_cvt_f32_i32_e32 v84, v84                                 // 0000000089BC: 7EA80B54
	v_cvt_f32_i32_e32 v85, v85                                 // 0000000089C0: 7EAA0B55
	v_cvt_f32_i32_e32 v86, v86                                 // 0000000089C4: 7EAC0B56
	v_cvt_f32_i32_e32 v87, v87                                 // 0000000089C8: 7EAE0B57
	v_mul_f32_e32 v84, v15, v84                                // 0000000089CC: 0AA8A90F
	v_mul_f32_e32 v85, v15, v85                                // 0000000089D0: 0AAAAB0F
	v_mul_f32_e32 v86, v15, v86                                // 0000000089D4: 0AACAD0F
	v_mul_f32_e32 v87, v15, v87                                // 0000000089D8: 0AAEAF0F
	v_mul_f32_dpp v84, v48, v84 row_newbcast:8 row_mask:0xf bank_mask:0xf// 0000000089DC: 0AA8A8FA FF015830
	v_mul_f32_dpp v85, v48, v85 row_newbcast:9 row_mask:0xf bank_mask:0xf// 0000000089E4: 0AAAAAFA FF015930
	v_mul_f32_dpp v86, v48, v86 row_newbcast:10 row_mask:0xf bank_mask:0xf// 0000000089EC: 0AACACFA FF015A30
	v_mul_f32_dpp v87, v48, v87 row_newbcast:11 row_mask:0xf bank_mask:0xf// 0000000089F4: 0AAEAEFA FF015B30
	v_cvt_f32_i32_e32 v88, v88                                 // 0000000089FC: 7EB00B58
	v_cvt_f32_i32_e32 v89, v89                                 // 000000008A00: 7EB20B59
	v_cvt_f32_i32_e32 v90, v90                                 // 000000008A04: 7EB40B5A
	v_cvt_f32_i32_e32 v91, v91                                 // 000000008A08: 7EB60B5B
	v_mul_f32_e32 v88, v14, v88                                // 000000008A0C: 0AB0B10E
	v_mul_f32_e32 v89, v14, v89                                // 000000008A10: 0AB2B30E
	v_mul_f32_e32 v90, v14, v90                                // 000000008A14: 0AB4B50E
	v_mul_f32_e32 v91, v14, v91                                // 000000008A18: 0AB6B70E
	v_mul_f32_dpp v88, v48, v88 row_newbcast:12 row_mask:0xf bank_mask:0xf// 000000008A1C: 0AB0B0FA FF015C30
	v_mul_f32_dpp v89, v48, v89 row_newbcast:13 row_mask:0xf bank_mask:0xf// 000000008A24: 0AB2B2FA FF015D30
	v_mul_f32_dpp v90, v48, v90 row_newbcast:14 row_mask:0xf bank_mask:0xf// 000000008A2C: 0AB4B4FA FF015E30
	v_mul_f32_dpp v91, v48, v91 row_newbcast:15 row_mask:0xf bank_mask:0xf// 000000008A34: 0AB6B6FA FF015F30
	v_cvt_f32_i32_e32 v92, v92                                 // 000000008A3C: 7EB80B5C
	v_cvt_f32_i32_e32 v93, v93                                 // 000000008A40: 7EBA0B5D
	v_cvt_f32_i32_e32 v94, v94                                 // 000000008A44: 7EBC0B5E
	v_cvt_f32_i32_e32 v95, v95                                 // 000000008A48: 7EBE0B5F
	v_mul_f32_e32 v92, v15, v92                                // 000000008A4C: 0AB8B90F
	v_mul_f32_e32 v93, v15, v93                                // 000000008A50: 0ABABB0F
	v_mul_f32_e32 v94, v15, v94                                // 000000008A54: 0ABCBD0F
	v_mul_f32_e32 v95, v15, v95                                // 000000008A58: 0ABEBF0F
	v_mul_f32_dpp v92, v48, v92 row_newbcast:12 row_mask:0xf bank_mask:0xf// 000000008A5C: 0AB8B8FA FF015C30
	v_mul_f32_dpp v93, v48, v93 row_newbcast:13 row_mask:0xf bank_mask:0xf// 000000008A64: 0ABABAFA FF015D30
	v_mul_f32_dpp v94, v48, v94 row_newbcast:14 row_mask:0xf bank_mask:0xf// 000000008A6C: 0ABCBCFA FF015E30
	v_mul_f32_dpp v95, v48, v95 row_newbcast:15 row_mask:0xf bank_mask:0xf// 000000008A74: 0ABEBEFA FF015F30
	v_cvt_f32_i32_e32 v96, v96                                 // 000000008A7C: 7EC00B60
	v_cvt_f32_i32_e32 v97, v97                                 // 000000008A80: 7EC20B61
	v_cvt_f32_i32_e32 v98, v98                                 // 000000008A84: 7EC40B62
	v_cvt_f32_i32_e32 v99, v99                                 // 000000008A88: 7EC60B63
	v_mul_f32_e32 v96, v14, v96                                // 000000008A8C: 0AC0C10E
	v_mul_f32_e32 v97, v14, v97                                // 000000008A90: 0AC2C30E
	v_mul_f32_e32 v98, v14, v98                                // 000000008A94: 0AC4C50E
	v_mul_f32_e32 v99, v14, v99                                // 000000008A98: 0AC6C70E
	v_mul_f32_dpp v96, v49, v96 row_newbcast:0 row_mask:0xf bank_mask:0xf// 000000008A9C: 0AC0C0FA FF015031
	v_mul_f32_dpp v97, v49, v97 row_newbcast:1 row_mask:0xf bank_mask:0xf// 000000008AA4: 0AC2C2FA FF015131
	v_mul_f32_dpp v98, v49, v98 row_newbcast:2 row_mask:0xf bank_mask:0xf// 000000008AAC: 0AC4C4FA FF015231
	v_mul_f32_dpp v99, v49, v99 row_newbcast:3 row_mask:0xf bank_mask:0xf// 000000008AB4: 0AC6C6FA FF015331
	v_cvt_f32_i32_e32 v100, v100                               // 000000008ABC: 7EC80B64
	v_cvt_f32_i32_e32 v101, v101                               // 000000008AC0: 7ECA0B65
	v_cvt_f32_i32_e32 v102, v102                               // 000000008AC4: 7ECC0B66
	v_cvt_f32_i32_e32 v103, v103                               // 000000008AC8: 7ECE0B67
	v_mul_f32_e32 v100, v15, v100                              // 000000008ACC: 0AC8C90F
	v_mul_f32_e32 v101, v15, v101                              // 000000008AD0: 0ACACB0F
	v_mul_f32_e32 v102, v15, v102                              // 000000008AD4: 0ACCCD0F
	v_mul_f32_e32 v103, v15, v103                              // 000000008AD8: 0ACECF0F
	v_mul_f32_dpp v100, v49, v100 row_newbcast:0 row_mask:0xf bank_mask:0xf// 000000008ADC: 0AC8C8FA FF015031
	v_mul_f32_dpp v101, v49, v101 row_newbcast:1 row_mask:0xf bank_mask:0xf// 000000008AE4: 0ACACAFA FF015131
	v_mul_f32_dpp v102, v49, v102 row_newbcast:2 row_mask:0xf bank_mask:0xf// 000000008AEC: 0ACCCCFA FF015231
	v_mul_f32_dpp v103, v49, v103 row_newbcast:3 row_mask:0xf bank_mask:0xf// 000000008AF4: 0ACECEFA FF015331
	v_cvt_f32_i32_e32 v104, v104                               // 000000008AFC: 7ED00B68
	v_cvt_f32_i32_e32 v105, v105                               // 000000008B00: 7ED20B69
	v_cvt_f32_i32_e32 v106, v106                               // 000000008B04: 7ED40B6A
	v_cvt_f32_i32_e32 v107, v107                               // 000000008B08: 7ED60B6B
	v_mul_f32_e32 v104, v14, v104                              // 000000008B0C: 0AD0D10E
	v_mul_f32_e32 v105, v14, v105                              // 000000008B10: 0AD2D30E
	v_mul_f32_e32 v106, v14, v106                              // 000000008B14: 0AD4D50E
	v_mul_f32_e32 v107, v14, v107                              // 000000008B18: 0AD6D70E
	v_mul_f32_dpp v104, v49, v104 row_newbcast:4 row_mask:0xf bank_mask:0xf// 000000008B1C: 0AD0D0FA FF015431
	v_mul_f32_dpp v105, v49, v105 row_newbcast:5 row_mask:0xf bank_mask:0xf// 000000008B24: 0AD2D2FA FF015531
	v_mul_f32_dpp v106, v49, v106 row_newbcast:6 row_mask:0xf bank_mask:0xf// 000000008B2C: 0AD4D4FA FF015631
	v_mul_f32_dpp v107, v49, v107 row_newbcast:7 row_mask:0xf bank_mask:0xf// 000000008B34: 0AD6D6FA FF015731
	v_cvt_f32_i32_e32 v108, v108                               // 000000008B3C: 7ED80B6C
	v_cvt_f32_i32_e32 v109, v109                               // 000000008B40: 7EDA0B6D
	v_cvt_f32_i32_e32 v110, v110                               // 000000008B44: 7EDC0B6E
	v_cvt_f32_i32_e32 v111, v111                               // 000000008B48: 7EDE0B6F
	v_mul_f32_e32 v108, v15, v108                              // 000000008B4C: 0AD8D90F
	v_mul_f32_e32 v109, v15, v109                              // 000000008B50: 0ADADB0F
	v_mul_f32_e32 v110, v15, v110                              // 000000008B54: 0ADCDD0F
	v_mul_f32_e32 v111, v15, v111                              // 000000008B58: 0ADEDF0F
	v_mul_f32_dpp v108, v49, v108 row_newbcast:4 row_mask:0xf bank_mask:0xf// 000000008B5C: 0AD8D8FA FF015431
	v_mul_f32_dpp v109, v49, v109 row_newbcast:5 row_mask:0xf bank_mask:0xf// 000000008B64: 0ADADAFA FF015531
	v_mul_f32_dpp v110, v49, v110 row_newbcast:6 row_mask:0xf bank_mask:0xf// 000000008B6C: 0ADCDCFA FF015631
	v_mul_f32_dpp v111, v49, v111 row_newbcast:7 row_mask:0xf bank_mask:0xf// 000000008B74: 0ADEDEFA FF015731
	s_waitcnt vmcnt(20)                                        // 000000008B7C: BF8C4F74
	buffer_load_dwordx4 a[0:3], v40, s[12:15], 0 offen         // 000000008B80: E05C1000 80830028
	v_mul_f32_e32 v50, v128, v128                              // 000000008B88: 0A650180
	v_mul_f32_e32 v51, v129, v129                              // 000000008B8C: 0A670381
	v_mul_f32_e32 v52, v130, v130                              // 000000008B90: 0A690582
	v_mul_f32_e32 v53, v131, v131                              // 000000008B94: 0A6B0783
	v_fma_f32 v50, v50, s77, v1                                // 000000008B98: D1CB0032 04049B32
	v_fma_f32 v51, v51, s77, v1                                // 000000008BA0: D1CB0033 04049B33
	v_fma_f32 v52, v52, s77, v1                                // 000000008BA8: D1CB0034 04049B34
	v_fma_f32 v53, v53, s77, v1                                // 000000008BB0: D1CB0035 04049B35
	v_mul_f32_e32 v50, v50, v128                               // 000000008BB8: 0A650132
	v_mul_f32_e32 v51, v51, v129                               // 000000008BBC: 0A670333
	v_mul_f32_e32 v52, v52, v130                               // 000000008BC0: 0A690534
	v_mul_f32_e32 v53, v53, v131                               // 000000008BC4: 0A6B0735
	v_mul_f32_e64 v50, v50, s6                                 // 000000008BC8: D1050032 00000D32
	v_mul_f32_e64 v51, v51, s6                                 // 000000008BD0: D1050033 00000D33
	v_mul_f32_e64 v52, v52, s6                                 // 000000008BD8: D1050034 00000D34
	v_mul_f32_e64 v53, v53, s6                                 // 000000008BE0: D1050035 00000D35
	v_exp_f32_e32 v50, v50                                     // 000000008BE8: 7E644132
	v_exp_f32_e32 v51, v51                                     // 000000008BEC: 7E664133
	v_exp_f32_e32 v52, v52                                     // 000000008BF0: 7E684134
	v_exp_f32_e32 v53, v53                                     // 000000008BF4: 7E6A4135
	buffer_load_dwordx4 a[4:7], v41, s[12:15], 0 offen         // 000000008BF8: E05C1000 80830429
	v_add_f32_e64 v50, v50, 1.0                                // 000000008C00: D1010032 0001E532
	v_add_f32_e64 v51, v51, 1.0                                // 000000008C08: D1010033 0001E533
	v_add_f32_e64 v52, v52, 1.0                                // 000000008C10: D1010034 0001E534
	v_add_f32_e64 v53, v53, 1.0                                // 000000008C18: D1010035 0001E535
	v_rcp_f32_e32 v50, v50                                     // 000000008C20: 7E644532
	v_rcp_f32_e32 v51, v51                                     // 000000008C24: 7E664533
	v_rcp_f32_e32 v52, v52                                     // 000000008C28: 7E684534
	v_rcp_f32_e32 v53, v53                                     // 000000008C2C: 7E6A4535
	v_mul_f32_e32 v128, v128, v50                              // 000000008C30: 0B006580
	v_mul_f32_e32 v129, v129, v51                              // 000000008C34: 0B026781
	v_mul_f32_e32 v130, v130, v52                              // 000000008C38: 0B046982
	v_mul_f32_e32 v131, v131, v53                              // 000000008C3C: 0B066B83
	v_mul_f32_e32 v128, v128, v64                              // 000000008C40: 0B008180
	v_mul_f32_e32 v129, v129, v65                              // 000000008C44: 0B028381
	v_mul_f32_e32 v130, v130, v66                              // 000000008C48: 0B048582
	v_mul_f32_e32 v131, v131, v67                              // 000000008C4C: 0B068783
	buffer_load_dwordx4 a[8:11], v42, s[12:15], 0 offen        // 000000008C50: E05C1000 8083082A
	v_mul_f32_e32 v50, v132, v132                              // 000000008C58: 0A650984
	v_mul_f32_e32 v51, v133, v133                              // 000000008C5C: 0A670B85
	v_mul_f32_e32 v52, v134, v134                              // 000000008C60: 0A690D86
	v_mul_f32_e32 v53, v135, v135                              // 000000008C64: 0A6B0F87
	v_fma_f32 v50, v50, s77, v1                                // 000000008C68: D1CB0032 04049B32
	v_fma_f32 v51, v51, s77, v1                                // 000000008C70: D1CB0033 04049B33
	v_fma_f32 v52, v52, s77, v1                                // 000000008C78: D1CB0034 04049B34
	v_fma_f32 v53, v53, s77, v1                                // 000000008C80: D1CB0035 04049B35
	v_mul_f32_e32 v50, v50, v132                               // 000000008C88: 0A650932
	v_mul_f32_e32 v51, v51, v133                               // 000000008C8C: 0A670B33
	v_mul_f32_e32 v52, v52, v134                               // 000000008C90: 0A690D34
	v_mul_f32_e32 v53, v53, v135                               // 000000008C94: 0A6B0F35
	v_mul_f32_e64 v50, v50, s6                                 // 000000008C98: D1050032 00000D32
	v_mul_f32_e64 v51, v51, s6                                 // 000000008CA0: D1050033 00000D33
	v_mul_f32_e64 v52, v52, s6                                 // 000000008CA8: D1050034 00000D34
	v_mul_f32_e64 v53, v53, s6                                 // 000000008CB0: D1050035 00000D35
	v_exp_f32_e32 v50, v50                                     // 000000008CB8: 7E644132
	v_exp_f32_e32 v51, v51                                     // 000000008CBC: 7E664133
	v_exp_f32_e32 v52, v52                                     // 000000008CC0: 7E684134
	v_exp_f32_e32 v53, v53                                     // 000000008CC4: 7E6A4135
	buffer_load_dwordx4 a[12:15], v43, s[12:15], 0 offen       // 000000008CC8: E05C1000 80830C2B
	s_add_u32 s12, s78, s12                                    // 000000008CD0: 800C0C4E
	s_addc_u32 s13, 0, s13                                     // 000000008CD4: 820D0D80
	v_add_f32_e64 v50, v50, 1.0                                // 000000008CD8: D1010032 0001E532
	v_add_f32_e64 v51, v51, 1.0                                // 000000008CE0: D1010033 0001E533
	v_add_f32_e64 v52, v52, 1.0                                // 000000008CE8: D1010034 0001E534
	v_add_f32_e64 v53, v53, 1.0                                // 000000008CF0: D1010035 0001E535
	v_rcp_f32_e32 v50, v50                                     // 000000008CF8: 7E644532
	v_rcp_f32_e32 v51, v51                                     // 000000008CFC: 7E664533
	v_rcp_f32_e32 v52, v52                                     // 000000008D00: 7E684534
	v_rcp_f32_e32 v53, v53                                     // 000000008D04: 7E6A4535
	v_mul_f32_e32 v132, v132, v50                              // 000000008D08: 0B086584
	v_mul_f32_e32 v133, v133, v51                              // 000000008D0C: 0B0A6785
	v_mul_f32_e32 v134, v134, v52                              // 000000008D10: 0B0C6986
	v_mul_f32_e32 v135, v135, v53                              // 000000008D14: 0B0E6B87
	v_mul_f32_e32 v132, v132, v68                              // 000000008D18: 0B088984
	v_mul_f32_e32 v133, v133, v69                              // 000000008D1C: 0B0A8B85
	v_mul_f32_e32 v134, v134, v70                              // 000000008D20: 0B0C8D86
	v_mul_f32_e32 v135, v135, v71                              // 000000008D24: 0B0E8F87
	s_waitcnt vmcnt(20)                                        // 000000008D28: BF8C4F74
	buffer_load_dwordx4 a[16:19], v40, s[12:15], 0 offen       // 000000008D2C: E05C1000 80831028
	v_mul_f32_e32 v50, v136, v136                              // 000000008D34: 0A651188
	v_mul_f32_e32 v51, v137, v137                              // 000000008D38: 0A671389
	v_mul_f32_e32 v52, v138, v138                              // 000000008D3C: 0A69158A
	v_mul_f32_e32 v53, v139, v139                              // 000000008D40: 0A6B178B
	v_fma_f32 v50, v50, s77, v1                                // 000000008D44: D1CB0032 04049B32
	v_fma_f32 v51, v51, s77, v1                                // 000000008D4C: D1CB0033 04049B33
	v_fma_f32 v52, v52, s77, v1                                // 000000008D54: D1CB0034 04049B34
	v_fma_f32 v53, v53, s77, v1                                // 000000008D5C: D1CB0035 04049B35
	v_mul_f32_e32 v50, v50, v136                               // 000000008D64: 0A651132
	v_mul_f32_e32 v51, v51, v137                               // 000000008D68: 0A671333
	v_mul_f32_e32 v52, v52, v138                               // 000000008D6C: 0A691534
	v_mul_f32_e32 v53, v53, v139                               // 000000008D70: 0A6B1735
	v_mul_f32_e64 v50, v50, s6                                 // 000000008D74: D1050032 00000D32
	v_mul_f32_e64 v51, v51, s6                                 // 000000008D7C: D1050033 00000D33
	v_mul_f32_e64 v52, v52, s6                                 // 000000008D84: D1050034 00000D34
	v_mul_f32_e64 v53, v53, s6                                 // 000000008D8C: D1050035 00000D35
	v_exp_f32_e32 v50, v50                                     // 000000008D94: 7E644132
	v_exp_f32_e32 v51, v51                                     // 000000008D98: 7E664133
	v_exp_f32_e32 v52, v52                                     // 000000008D9C: 7E684134
	v_exp_f32_e32 v53, v53                                     // 000000008DA0: 7E6A4135
	buffer_load_dwordx4 a[20:23], v41, s[12:15], 0 offen       // 000000008DA4: E05C1000 80831429
	v_add_f32_e64 v50, v50, 1.0                                // 000000008DAC: D1010032 0001E532
	v_add_f32_e64 v51, v51, 1.0                                // 000000008DB4: D1010033 0001E533
	v_add_f32_e64 v52, v52, 1.0                                // 000000008DBC: D1010034 0001E534
	v_add_f32_e64 v53, v53, 1.0                                // 000000008DC4: D1010035 0001E535
	v_rcp_f32_e32 v50, v50                                     // 000000008DCC: 7E644532
	v_rcp_f32_e32 v51, v51                                     // 000000008DD0: 7E664533
	v_rcp_f32_e32 v52, v52                                     // 000000008DD4: 7E684534
	v_rcp_f32_e32 v53, v53                                     // 000000008DD8: 7E6A4535
	v_mul_f32_e32 v136, v136, v50                              // 000000008DDC: 0B106588
	v_mul_f32_e32 v137, v137, v51                              // 000000008DE0: 0B126789
	v_mul_f32_e32 v138, v138, v52                              // 000000008DE4: 0B14698A
	v_mul_f32_e32 v139, v139, v53                              // 000000008DE8: 0B166B8B
	v_mul_f32_e32 v136, v136, v72                              // 000000008DEC: 0B109188
	v_mul_f32_e32 v137, v137, v73                              // 000000008DF0: 0B129389
	v_mul_f32_e32 v138, v138, v74                              // 000000008DF4: 0B14958A
	v_mul_f32_e32 v139, v139, v75                              // 000000008DF8: 0B16978B
	buffer_load_dwordx4 a[24:27], v42, s[12:15], 0 offen       // 000000008DFC: E05C1000 8083182A
	v_mul_f32_e32 v50, v140, v140                              // 000000008E04: 0A65198C
	v_mul_f32_e32 v51, v141, v141                              // 000000008E08: 0A671B8D
	v_mul_f32_e32 v52, v142, v142                              // 000000008E0C: 0A691D8E
	v_mul_f32_e32 v53, v143, v143                              // 000000008E10: 0A6B1F8F
	v_fma_f32 v50, v50, s77, v1                                // 000000008E14: D1CB0032 04049B32
	v_fma_f32 v51, v51, s77, v1                                // 000000008E1C: D1CB0033 04049B33
	v_fma_f32 v52, v52, s77, v1                                // 000000008E24: D1CB0034 04049B34
	v_fma_f32 v53, v53, s77, v1                                // 000000008E2C: D1CB0035 04049B35
	v_mul_f32_e32 v50, v50, v140                               // 000000008E34: 0A651932
	v_mul_f32_e32 v51, v51, v141                               // 000000008E38: 0A671B33
	v_mul_f32_e32 v52, v52, v142                               // 000000008E3C: 0A691D34
	v_mul_f32_e32 v53, v53, v143                               // 000000008E40: 0A6B1F35
	v_mul_f32_e64 v50, v50, s6                                 // 000000008E44: D1050032 00000D32
	v_mul_f32_e64 v51, v51, s6                                 // 000000008E4C: D1050033 00000D33
	v_mul_f32_e64 v52, v52, s6                                 // 000000008E54: D1050034 00000D34
	v_mul_f32_e64 v53, v53, s6                                 // 000000008E5C: D1050035 00000D35
	v_exp_f32_e32 v50, v50                                     // 000000008E64: 7E644132
	v_exp_f32_e32 v51, v51                                     // 000000008E68: 7E664133
	v_exp_f32_e32 v52, v52                                     // 000000008E6C: 7E684134
	v_exp_f32_e32 v53, v53                                     // 000000008E70: 7E6A4135
	buffer_load_dwordx4 a[28:31], v43, s[12:15], 0 offen       // 000000008E74: E05C1000 80831C2B
	s_add_u32 s12, s78, s12                                    // 000000008E7C: 800C0C4E
	s_addc_u32 s13, 0, s13                                     // 000000008E80: 820D0D80
	v_add_f32_e64 v50, v50, 1.0                                // 000000008E84: D1010032 0001E532
	v_add_f32_e64 v51, v51, 1.0                                // 000000008E8C: D1010033 0001E533
	v_add_f32_e64 v52, v52, 1.0                                // 000000008E94: D1010034 0001E534
	v_add_f32_e64 v53, v53, 1.0                                // 000000008E9C: D1010035 0001E535
	v_rcp_f32_e32 v50, v50                                     // 000000008EA4: 7E644532
	v_rcp_f32_e32 v51, v51                                     // 000000008EA8: 7E664533
	v_rcp_f32_e32 v52, v52                                     // 000000008EAC: 7E684534
	v_rcp_f32_e32 v53, v53                                     // 000000008EB0: 7E6A4535
	v_mul_f32_e32 v140, v140, v50                              // 000000008EB4: 0B18658C
	v_mul_f32_e32 v141, v141, v51                              // 000000008EB8: 0B1A678D
	v_mul_f32_e32 v142, v142, v52                              // 000000008EBC: 0B1C698E
	v_mul_f32_e32 v143, v143, v53                              // 000000008EC0: 0B1E6B8F
	v_mul_f32_e32 v140, v140, v76                              // 000000008EC4: 0B18998C
	v_mul_f32_e32 v141, v141, v77                              // 000000008EC8: 0B1A9B8D
	v_mul_f32_e32 v142, v142, v78                              // 000000008ECC: 0B1C9D8E
	v_mul_f32_e32 v143, v143, v79                              // 000000008ED0: 0B1E9F8F
	s_waitcnt vmcnt(20)                                        // 000000008ED4: BF8C4F74
	buffer_load_dwordx4 a[32:35], v40, s[12:15], 0 offen       // 000000008ED8: E05C1000 80832028
	v_mul_f32_e32 v50, v144, v144                              // 000000008EE0: 0A652190
	v_mul_f32_e32 v51, v145, v145                              // 000000008EE4: 0A672391
	v_mul_f32_e32 v52, v146, v146                              // 000000008EE8: 0A692592
	v_mul_f32_e32 v53, v147, v147                              // 000000008EEC: 0A6B2793
	v_fma_f32 v50, v50, s77, v1                                // 000000008EF0: D1CB0032 04049B32
	v_fma_f32 v51, v51, s77, v1                                // 000000008EF8: D1CB0033 04049B33
	v_fma_f32 v52, v52, s77, v1                                // 000000008F00: D1CB0034 04049B34
	v_fma_f32 v53, v53, s77, v1                                // 000000008F08: D1CB0035 04049B35
	v_mul_f32_e32 v50, v50, v144                               // 000000008F10: 0A652132
	v_mul_f32_e32 v51, v51, v145                               // 000000008F14: 0A672333
	v_mul_f32_e32 v52, v52, v146                               // 000000008F18: 0A692534
	v_mul_f32_e32 v53, v53, v147                               // 000000008F1C: 0A6B2735
	v_mul_f32_e64 v50, v50, s6                                 // 000000008F20: D1050032 00000D32
	v_mul_f32_e64 v51, v51, s6                                 // 000000008F28: D1050033 00000D33
	v_mul_f32_e64 v52, v52, s6                                 // 000000008F30: D1050034 00000D34
	v_mul_f32_e64 v53, v53, s6                                 // 000000008F38: D1050035 00000D35
	v_exp_f32_e32 v50, v50                                     // 000000008F40: 7E644132
	v_exp_f32_e32 v51, v51                                     // 000000008F44: 7E664133
	v_exp_f32_e32 v52, v52                                     // 000000008F48: 7E684134
	v_exp_f32_e32 v53, v53                                     // 000000008F4C: 7E6A4135
	buffer_load_dwordx4 a[36:39], v41, s[12:15], 0 offen       // 000000008F50: E05C1000 80832429
	v_add_f32_e64 v50, v50, 1.0                                // 000000008F58: D1010032 0001E532
	v_add_f32_e64 v51, v51, 1.0                                // 000000008F60: D1010033 0001E533
	v_add_f32_e64 v52, v52, 1.0                                // 000000008F68: D1010034 0001E534
	v_add_f32_e64 v53, v53, 1.0                                // 000000008F70: D1010035 0001E535
	v_rcp_f32_e32 v50, v50                                     // 000000008F78: 7E644532
	v_rcp_f32_e32 v51, v51                                     // 000000008F7C: 7E664533
	v_rcp_f32_e32 v52, v52                                     // 000000008F80: 7E684534
	v_rcp_f32_e32 v53, v53                                     // 000000008F84: 7E6A4535
	v_mul_f32_e32 v144, v144, v50                              // 000000008F88: 0B206590
	v_mul_f32_e32 v145, v145, v51                              // 000000008F8C: 0B226791
	v_mul_f32_e32 v146, v146, v52                              // 000000008F90: 0B246992
	v_mul_f32_e32 v147, v147, v53                              // 000000008F94: 0B266B93
	v_mul_f32_e32 v144, v144, v80                              // 000000008F98: 0B20A190
	v_mul_f32_e32 v145, v145, v81                              // 000000008F9C: 0B22A391
	v_mul_f32_e32 v146, v146, v82                              // 000000008FA0: 0B24A592
	v_mul_f32_e32 v147, v147, v83                              // 000000008FA4: 0B26A793
	buffer_load_dwordx4 a[40:43], v42, s[12:15], 0 offen       // 000000008FA8: E05C1000 8083282A
	v_mul_f32_e32 v50, v148, v148                              // 000000008FB0: 0A652994
	v_mul_f32_e32 v51, v149, v149                              // 000000008FB4: 0A672B95
	v_mul_f32_e32 v52, v150, v150                              // 000000008FB8: 0A692D96
	v_mul_f32_e32 v53, v151, v151                              // 000000008FBC: 0A6B2F97
	v_fma_f32 v50, v50, s77, v1                                // 000000008FC0: D1CB0032 04049B32
	v_fma_f32 v51, v51, s77, v1                                // 000000008FC8: D1CB0033 04049B33
	v_fma_f32 v52, v52, s77, v1                                // 000000008FD0: D1CB0034 04049B34
	v_fma_f32 v53, v53, s77, v1                                // 000000008FD8: D1CB0035 04049B35
	v_mul_f32_e32 v50, v50, v148                               // 000000008FE0: 0A652932
	v_mul_f32_e32 v51, v51, v149                               // 000000008FE4: 0A672B33
	v_mul_f32_e32 v52, v52, v150                               // 000000008FE8: 0A692D34
	v_mul_f32_e32 v53, v53, v151                               // 000000008FEC: 0A6B2F35
	v_mul_f32_e64 v50, v50, s6                                 // 000000008FF0: D1050032 00000D32
	v_mul_f32_e64 v51, v51, s6                                 // 000000008FF8: D1050033 00000D33
	v_mul_f32_e64 v52, v52, s6                                 // 000000009000: D1050034 00000D34
	v_mul_f32_e64 v53, v53, s6                                 // 000000009008: D1050035 00000D35
	v_exp_f32_e32 v50, v50                                     // 000000009010: 7E644132
	v_exp_f32_e32 v51, v51                                     // 000000009014: 7E664133
	v_exp_f32_e32 v52, v52                                     // 000000009018: 7E684134
	v_exp_f32_e32 v53, v53                                     // 00000000901C: 7E6A4135
	buffer_load_dwordx4 a[44:47], v43, s[12:15], 0 offen       // 000000009020: E05C1000 80832C2B
	s_add_u32 s12, s78, s12                                    // 000000009028: 800C0C4E
	s_addc_u32 s13, 0, s13                                     // 00000000902C: 820D0D80
	v_add_f32_e64 v50, v50, 1.0                                // 000000009030: D1010032 0001E532
	v_add_f32_e64 v51, v51, 1.0                                // 000000009038: D1010033 0001E533
	v_add_f32_e64 v52, v52, 1.0                                // 000000009040: D1010034 0001E534
	v_add_f32_e64 v53, v53, 1.0                                // 000000009048: D1010035 0001E535
	v_rcp_f32_e32 v50, v50                                     // 000000009050: 7E644532
	v_rcp_f32_e32 v51, v51                                     // 000000009054: 7E664533
	v_rcp_f32_e32 v52, v52                                     // 000000009058: 7E684534
	v_rcp_f32_e32 v53, v53                                     // 00000000905C: 7E6A4535
	v_mul_f32_e32 v148, v148, v50                              // 000000009060: 0B286594
	v_mul_f32_e32 v149, v149, v51                              // 000000009064: 0B2A6795
	v_mul_f32_e32 v150, v150, v52                              // 000000009068: 0B2C6996
	v_mul_f32_e32 v151, v151, v53                              // 00000000906C: 0B2E6B97
	v_mul_f32_e32 v148, v148, v84                              // 000000009070: 0B28A994
	v_mul_f32_e32 v149, v149, v85                              // 000000009074: 0B2AAB95
	v_mul_f32_e32 v150, v150, v86                              // 000000009078: 0B2CAD96
	v_mul_f32_e32 v151, v151, v87                              // 00000000907C: 0B2EAF97
	s_waitcnt vmcnt(20)                                        // 000000009080: BF8C4F74
	buffer_load_dwordx4 a[48:51], v40, s[12:15], 0 offen       // 000000009084: E05C1000 80833028
	v_mul_f32_e32 v50, v152, v152                              // 00000000908C: 0A653198
	v_mul_f32_e32 v51, v153, v153                              // 000000009090: 0A673399
	v_mul_f32_e32 v52, v154, v154                              // 000000009094: 0A69359A
	v_mul_f32_e32 v53, v155, v155                              // 000000009098: 0A6B379B
	v_fma_f32 v50, v50, s77, v1                                // 00000000909C: D1CB0032 04049B32
	v_fma_f32 v51, v51, s77, v1                                // 0000000090A4: D1CB0033 04049B33
	v_fma_f32 v52, v52, s77, v1                                // 0000000090AC: D1CB0034 04049B34
	v_fma_f32 v53, v53, s77, v1                                // 0000000090B4: D1CB0035 04049B35
	v_mul_f32_e32 v50, v50, v152                               // 0000000090BC: 0A653132
	v_mul_f32_e32 v51, v51, v153                               // 0000000090C0: 0A673333
	v_mul_f32_e32 v52, v52, v154                               // 0000000090C4: 0A693534
	v_mul_f32_e32 v53, v53, v155                               // 0000000090C8: 0A6B3735
	v_mul_f32_e64 v50, v50, s6                                 // 0000000090CC: D1050032 00000D32
	v_mul_f32_e64 v51, v51, s6                                 // 0000000090D4: D1050033 00000D33
	v_mul_f32_e64 v52, v52, s6                                 // 0000000090DC: D1050034 00000D34
	v_mul_f32_e64 v53, v53, s6                                 // 0000000090E4: D1050035 00000D35
	v_exp_f32_e32 v50, v50                                     // 0000000090EC: 7E644132
	v_exp_f32_e32 v51, v51                                     // 0000000090F0: 7E664133
	v_exp_f32_e32 v52, v52                                     // 0000000090F4: 7E684134
	v_exp_f32_e32 v53, v53                                     // 0000000090F8: 7E6A4135
	buffer_load_dwordx4 a[52:55], v41, s[12:15], 0 offen       // 0000000090FC: E05C1000 80833429
	v_add_f32_e64 v50, v50, 1.0                                // 000000009104: D1010032 0001E532
	v_add_f32_e64 v51, v51, 1.0                                // 00000000910C: D1010033 0001E533
	v_add_f32_e64 v52, v52, 1.0                                // 000000009114: D1010034 0001E534
	v_add_f32_e64 v53, v53, 1.0                                // 00000000911C: D1010035 0001E535
	v_rcp_f32_e32 v50, v50                                     // 000000009124: 7E644532
	v_rcp_f32_e32 v51, v51                                     // 000000009128: 7E664533
	v_rcp_f32_e32 v52, v52                                     // 00000000912C: 7E684534
	v_rcp_f32_e32 v53, v53                                     // 000000009130: 7E6A4535
	v_mul_f32_e32 v152, v152, v50                              // 000000009134: 0B306598
	v_mul_f32_e32 v153, v153, v51                              // 000000009138: 0B326799
	v_mul_f32_e32 v154, v154, v52                              // 00000000913C: 0B34699A
	v_mul_f32_e32 v155, v155, v53                              // 000000009140: 0B366B9B
	v_mul_f32_e32 v152, v152, v88                              // 000000009144: 0B30B198
	v_mul_f32_e32 v153, v153, v89                              // 000000009148: 0B32B399
	v_mul_f32_e32 v154, v154, v90                              // 00000000914C: 0B34B59A
	v_mul_f32_e32 v155, v155, v91                              // 000000009150: 0B36B79B
	buffer_load_dwordx4 a[56:59], v42, s[12:15], 0 offen       // 000000009154: E05C1000 8083382A
	v_mul_f32_e32 v50, v156, v156                              // 00000000915C: 0A65399C
	v_mul_f32_e32 v51, v157, v157                              // 000000009160: 0A673B9D
	v_mul_f32_e32 v52, v158, v158                              // 000000009164: 0A693D9E
	v_mul_f32_e32 v53, v159, v159                              // 000000009168: 0A6B3F9F
	v_fma_f32 v50, v50, s77, v1                                // 00000000916C: D1CB0032 04049B32
	v_fma_f32 v51, v51, s77, v1                                // 000000009174: D1CB0033 04049B33
	v_fma_f32 v52, v52, s77, v1                                // 00000000917C: D1CB0034 04049B34
	v_fma_f32 v53, v53, s77, v1                                // 000000009184: D1CB0035 04049B35
	v_mul_f32_e32 v50, v50, v156                               // 00000000918C: 0A653932
	v_mul_f32_e32 v51, v51, v157                               // 000000009190: 0A673B33
	v_mul_f32_e32 v52, v52, v158                               // 000000009194: 0A693D34
	v_mul_f32_e32 v53, v53, v159                               // 000000009198: 0A6B3F35
	v_mul_f32_e64 v50, v50, s6                                 // 00000000919C: D1050032 00000D32
	v_mul_f32_e64 v51, v51, s6                                 // 0000000091A4: D1050033 00000D33
	v_mul_f32_e64 v52, v52, s6                                 // 0000000091AC: D1050034 00000D34
	v_mul_f32_e64 v53, v53, s6                                 // 0000000091B4: D1050035 00000D35
	v_exp_f32_e32 v50, v50                                     // 0000000091BC: 7E644132
	v_exp_f32_e32 v51, v51                                     // 0000000091C0: 7E664133
	v_exp_f32_e32 v52, v52                                     // 0000000091C4: 7E684134
	v_exp_f32_e32 v53, v53                                     // 0000000091C8: 7E6A4135
	buffer_load_dwordx4 a[60:63], v43, s[12:15], 0 offen       // 0000000091CC: E05C1000 80833C2B
	s_add_u32 s12, s78, s12                                    // 0000000091D4: 800C0C4E
	s_addc_u32 s13, 0, s13                                     // 0000000091D8: 820D0D80
	v_add_f32_e64 v50, v50, 1.0                                // 0000000091DC: D1010032 0001E532
	v_add_f32_e64 v51, v51, 1.0                                // 0000000091E4: D1010033 0001E533
	v_add_f32_e64 v52, v52, 1.0                                // 0000000091EC: D1010034 0001E534
	v_add_f32_e64 v53, v53, 1.0                                // 0000000091F4: D1010035 0001E535
	v_rcp_f32_e32 v50, v50                                     // 0000000091FC: 7E644532
	v_rcp_f32_e32 v51, v51                                     // 000000009200: 7E664533
	v_rcp_f32_e32 v52, v52                                     // 000000009204: 7E684534
	v_rcp_f32_e32 v53, v53                                     // 000000009208: 7E6A4535
	v_mul_f32_e32 v156, v156, v50                              // 00000000920C: 0B38659C
	v_mul_f32_e32 v157, v157, v51                              // 000000009210: 0B3A679D
	v_mul_f32_e32 v158, v158, v52                              // 000000009214: 0B3C699E
	v_mul_f32_e32 v159, v159, v53                              // 000000009218: 0B3E6B9F
	v_mul_f32_e32 v156, v156, v92                              // 00000000921C: 0B38B99C
	v_mul_f32_e32 v157, v157, v93                              // 000000009220: 0B3ABB9D
	v_mul_f32_e32 v158, v158, v94                              // 000000009224: 0B3CBD9E
	v_mul_f32_e32 v159, v159, v95                              // 000000009228: 0B3EBF9F
	s_waitcnt vmcnt(20)                                        // 00000000922C: BF8C4F74
	buffer_load_dwordx4 a[64:67], v40, s[12:15], 0 offen       // 000000009230: E05C1000 80834028
	v_mul_f32_e32 v50, v160, v160                              // 000000009238: 0A6541A0
	v_mul_f32_e32 v51, v161, v161                              // 00000000923C: 0A6743A1
	v_mul_f32_e32 v52, v162, v162                              // 000000009240: 0A6945A2
	v_mul_f32_e32 v53, v163, v163                              // 000000009244: 0A6B47A3
	v_fma_f32 v50, v50, s77, v1                                // 000000009248: D1CB0032 04049B32
	v_fma_f32 v51, v51, s77, v1                                // 000000009250: D1CB0033 04049B33
	v_fma_f32 v52, v52, s77, v1                                // 000000009258: D1CB0034 04049B34
	v_fma_f32 v53, v53, s77, v1                                // 000000009260: D1CB0035 04049B35
	v_mul_f32_e32 v50, v50, v160                               // 000000009268: 0A654132
	v_mul_f32_e32 v51, v51, v161                               // 00000000926C: 0A674333
	v_mul_f32_e32 v52, v52, v162                               // 000000009270: 0A694534
	v_mul_f32_e32 v53, v53, v163                               // 000000009274: 0A6B4735
	v_mul_f32_e64 v50, v50, s6                                 // 000000009278: D1050032 00000D32
	v_mul_f32_e64 v51, v51, s6                                 // 000000009280: D1050033 00000D33
	v_mul_f32_e64 v52, v52, s6                                 // 000000009288: D1050034 00000D34
	v_mul_f32_e64 v53, v53, s6                                 // 000000009290: D1050035 00000D35
	v_exp_f32_e32 v50, v50                                     // 000000009298: 7E644132
	v_exp_f32_e32 v51, v51                                     // 00000000929C: 7E664133
	v_exp_f32_e32 v52, v52                                     // 0000000092A0: 7E684134
	v_exp_f32_e32 v53, v53                                     // 0000000092A4: 7E6A4135
	buffer_load_dwordx4 a[68:71], v41, s[12:15], 0 offen       // 0000000092A8: E05C1000 80834429
	v_add_f32_e64 v50, v50, 1.0                                // 0000000092B0: D1010032 0001E532
	v_add_f32_e64 v51, v51, 1.0                                // 0000000092B8: D1010033 0001E533
	v_add_f32_e64 v52, v52, 1.0                                // 0000000092C0: D1010034 0001E534
	v_add_f32_e64 v53, v53, 1.0                                // 0000000092C8: D1010035 0001E535
	v_rcp_f32_e32 v50, v50                                     // 0000000092D0: 7E644532
	v_rcp_f32_e32 v51, v51                                     // 0000000092D4: 7E664533
	v_rcp_f32_e32 v52, v52                                     // 0000000092D8: 7E684534
	v_rcp_f32_e32 v53, v53                                     // 0000000092DC: 7E6A4535
	v_mul_f32_e32 v160, v160, v50                              // 0000000092E0: 0B4065A0
	v_mul_f32_e32 v161, v161, v51                              // 0000000092E4: 0B4267A1
	v_mul_f32_e32 v162, v162, v52                              // 0000000092E8: 0B4469A2
	v_mul_f32_e32 v163, v163, v53                              // 0000000092EC: 0B466BA3
	v_mul_f32_e32 v160, v160, v96                              // 0000000092F0: 0B40C1A0
	v_mul_f32_e32 v161, v161, v97                              // 0000000092F4: 0B42C3A1
	v_mul_f32_e32 v162, v162, v98                              // 0000000092F8: 0B44C5A2
	v_mul_f32_e32 v163, v163, v99                              // 0000000092FC: 0B46C7A3
	buffer_load_dwordx4 a[72:75], v42, s[12:15], 0 offen       // 000000009300: E05C1000 8083482A
	v_mul_f32_e32 v50, v164, v164                              // 000000009308: 0A6549A4
	v_mul_f32_e32 v51, v165, v165                              // 00000000930C: 0A674BA5
	v_mul_f32_e32 v52, v166, v166                              // 000000009310: 0A694DA6
	v_mul_f32_e32 v53, v167, v167                              // 000000009314: 0A6B4FA7
	v_fma_f32 v50, v50, s77, v1                                // 000000009318: D1CB0032 04049B32
	v_fma_f32 v51, v51, s77, v1                                // 000000009320: D1CB0033 04049B33
	v_fma_f32 v52, v52, s77, v1                                // 000000009328: D1CB0034 04049B34
	v_fma_f32 v53, v53, s77, v1                                // 000000009330: D1CB0035 04049B35
	v_mul_f32_e32 v50, v50, v164                               // 000000009338: 0A654932
	v_mul_f32_e32 v51, v51, v165                               // 00000000933C: 0A674B33
	v_mul_f32_e32 v52, v52, v166                               // 000000009340: 0A694D34
	v_mul_f32_e32 v53, v53, v167                               // 000000009344: 0A6B4F35
	v_mul_f32_e64 v50, v50, s6                                 // 000000009348: D1050032 00000D32
	v_mul_f32_e64 v51, v51, s6                                 // 000000009350: D1050033 00000D33
	v_mul_f32_e64 v52, v52, s6                                 // 000000009358: D1050034 00000D34
	v_mul_f32_e64 v53, v53, s6                                 // 000000009360: D1050035 00000D35
	v_exp_f32_e32 v50, v50                                     // 000000009368: 7E644132
	v_exp_f32_e32 v51, v51                                     // 00000000936C: 7E664133
	v_exp_f32_e32 v52, v52                                     // 000000009370: 7E684134
	v_exp_f32_e32 v53, v53                                     // 000000009374: 7E6A4135
	buffer_load_dwordx4 a[76:79], v43, s[12:15], 0 offen       // 000000009378: E05C1000 80834C2B
	s_add_u32 s12, s78, s12                                    // 000000009380: 800C0C4E
	s_addc_u32 s13, 0, s13                                     // 000000009384: 820D0D80
	v_add_f32_e64 v50, v50, 1.0                                // 000000009388: D1010032 0001E532
	v_add_f32_e64 v51, v51, 1.0                                // 000000009390: D1010033 0001E533
	v_add_f32_e64 v52, v52, 1.0                                // 000000009398: D1010034 0001E534
	v_add_f32_e64 v53, v53, 1.0                                // 0000000093A0: D1010035 0001E535
	v_rcp_f32_e32 v50, v50                                     // 0000000093A8: 7E644532
	v_rcp_f32_e32 v51, v51                                     // 0000000093AC: 7E664533
	v_rcp_f32_e32 v52, v52                                     // 0000000093B0: 7E684534
	v_rcp_f32_e32 v53, v53                                     // 0000000093B4: 7E6A4535
	v_mul_f32_e32 v164, v164, v50                              // 0000000093B8: 0B4865A4
	v_mul_f32_e32 v165, v165, v51                              // 0000000093BC: 0B4A67A5
	v_mul_f32_e32 v166, v166, v52                              // 0000000093C0: 0B4C69A6
	v_mul_f32_e32 v167, v167, v53                              // 0000000093C4: 0B4E6BA7
	v_mul_f32_e32 v164, v164, v100                             // 0000000093C8: 0B48C9A4
	v_mul_f32_e32 v165, v165, v101                             // 0000000093CC: 0B4ACBA5
	v_mul_f32_e32 v166, v166, v102                             // 0000000093D0: 0B4CCDA6
	v_mul_f32_e32 v167, v167, v103                             // 0000000093D4: 0B4ECFA7
	s_waitcnt vmcnt(20)                                        // 0000000093D8: BF8C4F74
	buffer_load_dwordx4 a[80:83], v40, s[12:15], 0 offen       // 0000000093DC: E05C1000 80835028
	v_mul_f32_e32 v50, v168, v168                              // 0000000093E4: 0A6551A8
	v_mul_f32_e32 v51, v169, v169                              // 0000000093E8: 0A6753A9
	v_mul_f32_e32 v52, v170, v170                              // 0000000093EC: 0A6955AA
	v_mul_f32_e32 v53, v171, v171                              // 0000000093F0: 0A6B57AB
	v_fma_f32 v50, v50, s77, v1                                // 0000000093F4: D1CB0032 04049B32
	v_fma_f32 v51, v51, s77, v1                                // 0000000093FC: D1CB0033 04049B33
	v_fma_f32 v52, v52, s77, v1                                // 000000009404: D1CB0034 04049B34
	v_fma_f32 v53, v53, s77, v1                                // 00000000940C: D1CB0035 04049B35
	v_mul_f32_e32 v50, v50, v168                               // 000000009414: 0A655132
	v_mul_f32_e32 v51, v51, v169                               // 000000009418: 0A675333
	v_mul_f32_e32 v52, v52, v170                               // 00000000941C: 0A695534
	v_mul_f32_e32 v53, v53, v171                               // 000000009420: 0A6B5735
	v_mul_f32_e64 v50, v50, s6                                 // 000000009424: D1050032 00000D32
	v_mul_f32_e64 v51, v51, s6                                 // 00000000942C: D1050033 00000D33
	v_mul_f32_e64 v52, v52, s6                                 // 000000009434: D1050034 00000D34
	v_mul_f32_e64 v53, v53, s6                                 // 00000000943C: D1050035 00000D35
	v_exp_f32_e32 v50, v50                                     // 000000009444: 7E644132
	v_exp_f32_e32 v51, v51                                     // 000000009448: 7E664133
	v_exp_f32_e32 v52, v52                                     // 00000000944C: 7E684134
	v_exp_f32_e32 v53, v53                                     // 000000009450: 7E6A4135
	buffer_load_dwordx4 a[84:87], v41, s[12:15], 0 offen       // 000000009454: E05C1000 80835429
	v_add_f32_e64 v50, v50, 1.0                                // 00000000945C: D1010032 0001E532
	v_add_f32_e64 v51, v51, 1.0                                // 000000009464: D1010033 0001E533
	v_add_f32_e64 v52, v52, 1.0                                // 00000000946C: D1010034 0001E534
	v_add_f32_e64 v53, v53, 1.0                                // 000000009474: D1010035 0001E535
	v_rcp_f32_e32 v50, v50                                     // 00000000947C: 7E644532
	v_rcp_f32_e32 v51, v51                                     // 000000009480: 7E664533
	v_rcp_f32_e32 v52, v52                                     // 000000009484: 7E684534
	v_rcp_f32_e32 v53, v53                                     // 000000009488: 7E6A4535
	v_mul_f32_e32 v168, v168, v50                              // 00000000948C: 0B5065A8
	v_mul_f32_e32 v169, v169, v51                              // 000000009490: 0B5267A9
	v_mul_f32_e32 v170, v170, v52                              // 000000009494: 0B5469AA
	v_mul_f32_e32 v171, v171, v53                              // 000000009498: 0B566BAB
	v_mul_f32_e32 v168, v168, v104                             // 00000000949C: 0B50D1A8
	v_mul_f32_e32 v169, v169, v105                             // 0000000094A0: 0B52D3A9
	v_mul_f32_e32 v170, v170, v106                             // 0000000094A4: 0B54D5AA
	v_mul_f32_e32 v171, v171, v107                             // 0000000094A8: 0B56D7AB
	buffer_load_dwordx4 a[88:91], v42, s[12:15], 0 offen       // 0000000094AC: E05C1000 8083582A
	v_mul_f32_e32 v50, v172, v172                              // 0000000094B4: 0A6559AC
	v_mul_f32_e32 v51, v173, v173                              // 0000000094B8: 0A675BAD
	v_mul_f32_e32 v52, v174, v174                              // 0000000094BC: 0A695DAE
	v_mul_f32_e32 v53, v175, v175                              // 0000000094C0: 0A6B5FAF
	v_fma_f32 v50, v50, s77, v1                                // 0000000094C4: D1CB0032 04049B32
	v_fma_f32 v51, v51, s77, v1                                // 0000000094CC: D1CB0033 04049B33
	v_fma_f32 v52, v52, s77, v1                                // 0000000094D4: D1CB0034 04049B34
	v_fma_f32 v53, v53, s77, v1                                // 0000000094DC: D1CB0035 04049B35
	v_mul_f32_e32 v50, v50, v172                               // 0000000094E4: 0A655932
	v_mul_f32_e32 v51, v51, v173                               // 0000000094E8: 0A675B33
	v_mul_f32_e32 v52, v52, v174                               // 0000000094EC: 0A695D34
	v_mul_f32_e32 v53, v53, v175                               // 0000000094F0: 0A6B5F35
	v_mul_f32_e64 v50, v50, s6                                 // 0000000094F4: D1050032 00000D32
	v_mul_f32_e64 v51, v51, s6                                 // 0000000094FC: D1050033 00000D33
	v_mul_f32_e64 v52, v52, s6                                 // 000000009504: D1050034 00000D34
	v_mul_f32_e64 v53, v53, s6                                 // 00000000950C: D1050035 00000D35
	v_exp_f32_e32 v50, v50                                     // 000000009514: 7E644132
	v_exp_f32_e32 v51, v51                                     // 000000009518: 7E664133
	v_exp_f32_e32 v52, v52                                     // 00000000951C: 7E684134
	v_exp_f32_e32 v53, v53                                     // 000000009520: 7E6A4135
	buffer_load_dwordx4 a[92:95], v43, s[12:15], 0 offen       // 000000009524: E05C1000 80835C2B
	v_add_f32_e64 v50, v50, 1.0                                // 00000000952C: D1010032 0001E532
	v_add_f32_e64 v51, v51, 1.0                                // 000000009534: D1010033 0001E533
	v_add_f32_e64 v52, v52, 1.0                                // 00000000953C: D1010034 0001E534
	v_add_f32_e64 v53, v53, 1.0                                // 000000009544: D1010035 0001E535
	v_rcp_f32_e32 v50, v50                                     // 00000000954C: 7E644532
	v_rcp_f32_e32 v51, v51                                     // 000000009550: 7E664533
	v_rcp_f32_e32 v52, v52                                     // 000000009554: 7E684534
	v_rcp_f32_e32 v53, v53                                     // 000000009558: 7E6A4535
	v_mul_f32_e32 v172, v172, v50                              // 00000000955C: 0B5865AC
	v_mul_f32_e32 v173, v173, v51                              // 000000009560: 0B5A67AD
	v_mul_f32_e32 v174, v174, v52                              // 000000009564: 0B5C69AE
	v_mul_f32_e32 v175, v175, v53                              // 000000009568: 0B5E6BAF
	v_mul_f32_e32 v172, v172, v108                             // 00000000956C: 0B58D9AC
	v_mul_f32_e32 v173, v173, v109                             // 000000009570: 0B5ADBAD
	v_mul_f32_e32 v174, v174, v110                             // 000000009574: 0B5CDDAE
	v_mul_f32_e32 v175, v175, v111                             // 000000009578: 0B5EDFAF
	v_lshlrev_b32_e32 v50, 2, v0                               // 00000000957C: 24640082
	s_mul_i32 s60, s82, s71                                    // 000000009580: 923C4752
	v_add_u32_e64 v80, v50, s60                                // 000000009584: D1340050 00007932
	v_mov_b32_e32 v81, 0                                       // 00000000958C: 7EA20280
	s_mul_i32 s60, s83, s71                                    // 000000009590: 923C4753
	v_add_u32_e64 v82, v50, s60                                // 000000009594: D1340052 00007932
	v_mov_b32_e32 v83, 0                                       // 00000000959C: 7EA60280
	s_mul_i32 s60, s84, s71                                    // 0000000095A0: 923C4754
	v_add_u32_e64 v84, v50, s60                                // 0000000095A4: D1340054 00007932
	v_mov_b32_e32 v85, 0                                       // 0000000095AC: 7EAA0280
	s_mul_i32 s60, s85, s71                                    // 0000000095B0: 923C4755
	v_add_u32_e64 v86, v50, s60                                // 0000000095B4: D1340056 00007932
	v_mov_b32_e32 v87, 0                                       // 0000000095BC: 7EAE0280
	s_mul_i32 s60, s86, s71                                    // 0000000095C0: 923C4756
	v_add_u32_e64 v88, v50, s60                                // 0000000095C4: D1340058 00007932
	v_mov_b32_e32 v89, 0                                       // 0000000095CC: 7EB20280
	s_mul_i32 s60, s87, s71                                    // 0000000095D0: 923C4757
	v_add_u32_e64 v90, v50, s60                                // 0000000095D4: D134005A 00007932
	v_mov_b32_e32 v91, 0                                       // 0000000095DC: 7EB60280
	s_mul_i32 s60, s88, s71                                    // 0000000095E0: 923C4758
	v_add_u32_e64 v92, v50, s60                                // 0000000095E4: D134005C 00007932
	v_mov_b32_e32 v93, 0                                       // 0000000095EC: 7EBA0280
	s_mul_i32 s60, s89, s71                                    // 0000000095F0: 923C4759
	v_add_u32_e64 v94, v50, s60                                // 0000000095F4: D134005E 00007932
	v_mov_b32_e32 v95, 0                                       // 0000000095FC: 7EBE0280
	buffer_load_dword v12, v5, s[16:19], 0 offen               // 000000009600: E0501000 80040C05
	v_mov_b32_e32 v22, 0x358637bd                              // 000000009608: 7E2C02FF 358637BD
	v_mov_b32_e32 v23, 0x358637bd                              // 000000009610: 7E2E02FF 358637BD
	v_max3_f32 v22, |v128|, |v129|, v22                        // 000000009618: D1D30316 045B0380
	v_max3_f32 v22, |v130|, |v131|, v22                        // 000000009620: D1D30316 045B0782
	v_max3_f32 v23, |v132|, |v133|, v23                        // 000000009628: D1D30317 045F0B84
	v_max3_f32 v23, |v134|, |v135|, v23                        // 000000009630: D1D30317 045F0F86
	v_max3_f32 v22, |v136|, |v137|, v22                        // 000000009638: D1D30316 045B1388
	v_max3_f32 v22, |v138|, |v139|, v22                        // 000000009640: D1D30316 045B178A
	v_max3_f32 v23, |v140|, |v141|, v23                        // 000000009648: D1D30317 045F1B8C
	v_max3_f32 v23, |v142|, |v143|, v23                        // 000000009650: D1D30317 045F1F8E
	v_max3_f32 v22, |v144|, |v145|, v22                        // 000000009658: D1D30316 045B2390
	v_max3_f32 v22, |v146|, |v147|, v22                        // 000000009660: D1D30316 045B2792
	v_max3_f32 v23, |v148|, |v149|, v23                        // 000000009668: D1D30317 045F2B94
	v_max3_f32 v23, |v150|, |v151|, v23                        // 000000009670: D1D30317 045F2F96
	v_max3_f32 v22, |v152|, |v153|, v22                        // 000000009678: D1D30316 045B3398
	v_max3_f32 v22, |v154|, |v155|, v22                        // 000000009680: D1D30316 045B379A
	v_max3_f32 v23, |v156|, |v157|, v23                        // 000000009688: D1D30317 045F3B9C
	v_max3_f32 v23, |v158|, |v159|, v23                        // 000000009690: D1D30317 045F3F9E
	v_max3_f32 v22, |v160|, |v161|, v22                        // 000000009698: D1D30316 045B43A0
	v_max3_f32 v22, |v162|, |v163|, v22                        // 0000000096A0: D1D30316 045B47A2
	v_max3_f32 v23, |v164|, |v165|, v23                        // 0000000096A8: D1D30317 045F4BA4
	v_max3_f32 v23, |v166|, |v167|, v23                        // 0000000096B0: D1D30317 045F4FA6
	v_max3_f32 v22, |v168|, |v169|, v22                        // 0000000096B8: D1D30316 045B53A8
	v_max3_f32 v22, |v170|, |v171|, v22                        // 0000000096C0: D1D30316 045B57AA
	v_max3_f32 v23, |v172|, |v173|, v23                        // 0000000096C8: D1D30317 045F5BAC
	v_max3_f32 v23, |v174|, |v175|, v23                        // 0000000096D0: D1D30317 045F5FAE
	v_lshlrev_b32_e32 v50, 3, v0                               // 0000000096D8: 24640083
	s_mul_i32 s60, 0x200, s7                                   // 0000000096DC: 923C07FF 00000200
	v_add_u32_e32 v50, s60, v50                                // 0000000096E4: 6864643C
	ds_write_b64 v50, v[22:23] offset:16640                    // 0000000096E8: D89A4100 00001632
	s_waitcnt lgkmcnt(0)                                       // 0000000096F0: BF8CC07F
	s_barrier                                                  // 0000000096F4: BF8A0000
	v_and_b32_e32 v50, 15, v0                                  // 0000000096F8: 2664008F
	v_lshlrev_b32_e32 v50, 3, v50                              // 0000000096FC: 24646483
	ds_read_b64 v[96:97], v50 offset:16640                     // 000000009700: D8EC4100 60000032
	ds_read_b64 v[98:99], v50 offset:16768                     // 000000009708: D8EC4180 62000032
	ds_read_b64 v[100:101], v50 offset:16896                   // 000000009710: D8EC4200 64000032
	ds_read_b64 v[102:103], v50 offset:17024                   // 000000009718: D8EC4280 66000032
	ds_read_b64 v[104:105], v50 offset:17152                   // 000000009720: D8EC4300 68000032
	ds_read_b64 v[106:107], v50 offset:17280                   // 000000009728: D8EC4380 6A000032
	ds_read_b64 v[108:109], v50 offset:17408                   // 000000009730: D8EC4400 6C000032
	ds_read_b64 v[110:111], v50 offset:17536                   // 000000009738: D8EC4480 6E000032
	ds_read_b64 v[112:113], v50 offset:17664                   // 000000009740: D8EC4500 70000032
	ds_read_b64 v[114:115], v50 offset:17792                   // 000000009748: D8EC4580 72000032
	ds_read_b64 v[116:117], v50 offset:17920                   // 000000009750: D8EC4600 74000032
	ds_read_b64 v[118:119], v50 offset:18048                   // 000000009758: D8EC4680 76000032
	ds_read_b64 v[120:121], v50 offset:18176                   // 000000009760: D8EC4700 78000032
	ds_read_b64 v[122:123], v50 offset:18304                   // 000000009768: D8EC4780 7A000032
	ds_read_b64 v[124:125], v50 offset:18432                   // 000000009770: D8EC4800 7C000032
	ds_read_b64 v[126:127], v50 offset:18560                   // 000000009778: D8EC4880 7E000032
	s_waitcnt lgkmcnt(0)                                       // 000000009780: BF8CC07F
	v_max3_f32 v22, |v96|, |v98|, v22                          // 000000009784: D1D30316 045AC560
	v_max3_f32 v23, |v97|, |v99|, v23                          // 00000000978C: D1D30317 045EC761
	v_max3_f32 v22, |v100|, |v102|, v22                        // 000000009794: D1D30316 045ACD64
	v_max3_f32 v23, |v101|, |v103|, v23                        // 00000000979C: D1D30317 045ECF65
	v_max3_f32 v22, |v104|, |v106|, v22                        // 0000000097A4: D1D30316 045AD568
	v_max3_f32 v23, |v105|, |v107|, v23                        // 0000000097AC: D1D30317 045ED769
	v_max3_f32 v22, |v108|, |v110|, v22                        // 0000000097B4: D1D30316 045ADD6C
	v_max3_f32 v23, |v109|, |v111|, v23                        // 0000000097BC: D1D30317 045EDF6D
	v_max3_f32 v22, |v112|, |v114|, v22                        // 0000000097C4: D1D30316 045AE570
	v_max3_f32 v23, |v113|, |v115|, v23                        // 0000000097CC: D1D30317 045EE771
	v_max3_f32 v22, |v116|, |v118|, v22                        // 0000000097D4: D1D30316 045AED74
	v_max3_f32 v23, |v117|, |v119|, v23                        // 0000000097DC: D1D30317 045EEF75
	v_max3_f32 v22, |v120|, |v122|, v22                        // 0000000097E4: D1D30316 045AF578
	v_max3_f32 v23, |v121|, |v123|, v23                        // 0000000097EC: D1D30317 045EF779
	v_max3_f32 v22, |v124|, |v126|, v22                        // 0000000097F4: D1D30316 045AFD7C
	v_max3_f32 v23, |v125|, |v127|, v23                        // 0000000097FC: D1D30317 045EFF7D
	v_rcp_f32_e32 v22, v22                                     // 000000009804: 7E2C4516
	v_rcp_f32_e32 v23, v23                                     // 000000009808: 7E2E4517
	v_mul_f32_e32 v22, 0x42fe0000, v22                         // 00000000980C: 0A2C2CFF 42FE0000
	v_mul_f32_e32 v23, 0x42fe0000, v23                         // 000000009814: 0A2E2EFF 42FE0000
	v_mul_f32_e32 v128, v22, v128                              // 00000000981C: 0B010116
	v_mul_f32_e32 v129, v22, v129                              // 000000009820: 0B030316
	v_mul_f32_e32 v130, v22, v130                              // 000000009824: 0B050516
	v_mul_f32_e32 v131, v22, v131                              // 000000009828: 0B070716
	v_cvt_i32_f32_e32 v128, v128                               // 00000000982C: 7F001180
	v_cvt_i32_f32_e32 v129, v129                               // 000000009830: 7F021181
	v_cvt_i32_f32_e32 v130, v130                               // 000000009834: 7F041182
	v_cvt_i32_f32_e32 v131, v131                               // 000000009838: 7F061183
	v_perm_b32 v128, v129, v128, s53                           // 00000000983C: D1ED0080 00D70181
	v_perm_b32 v128, v130, v128, s54                           // 000000009844: D1ED0080 00DB0182
	v_perm_b32 v128, v131, v128, s55                           // 00000000984C: D1ED0080 00DF0183
	v_mul_f32_e32 v132, v23, v132                              // 000000009854: 0B090917
	v_mul_f32_e32 v133, v23, v133                              // 000000009858: 0B0B0B17
	v_mul_f32_e32 v134, v23, v134                              // 00000000985C: 0B0D0D17
	v_mul_f32_e32 v135, v23, v135                              // 000000009860: 0B0F0F17
	v_cvt_i32_f32_e32 v132, v132                               // 000000009864: 7F081184
	v_cvt_i32_f32_e32 v133, v133                               // 000000009868: 7F0A1185
	v_cvt_i32_f32_e32 v134, v134                               // 00000000986C: 7F0C1186
	v_cvt_i32_f32_e32 v135, v135                               // 000000009870: 7F0E1187
	v_perm_b32 v129, v133, v132, s53                           // 000000009874: D1ED0081 00D70985
	v_perm_b32 v129, v134, v129, s54                           // 00000000987C: D1ED0081 00DB0386
	v_perm_b32 v129, v135, v129, s55                           // 000000009884: D1ED0081 00DF0387
	v_mul_f32_e32 v136, v22, v136                              // 00000000988C: 0B111116
	v_mul_f32_e32 v137, v22, v137                              // 000000009890: 0B131316
	v_mul_f32_e32 v138, v22, v138                              // 000000009894: 0B151516
	v_mul_f32_e32 v139, v22, v139                              // 000000009898: 0B171716
	v_cvt_i32_f32_e32 v136, v136                               // 00000000989C: 7F101188
	v_cvt_i32_f32_e32 v137, v137                               // 0000000098A0: 7F121189
	v_cvt_i32_f32_e32 v138, v138                               // 0000000098A4: 7F14118A
	v_cvt_i32_f32_e32 v139, v139                               // 0000000098A8: 7F16118B
	v_perm_b32 v130, v137, v136, s53                           // 0000000098AC: D1ED0082 00D71189
	v_perm_b32 v130, v138, v130, s54                           // 0000000098B4: D1ED0082 00DB058A
	v_perm_b32 v130, v139, v130, s55                           // 0000000098BC: D1ED0082 00DF058B
	v_mul_f32_e32 v140, v23, v140                              // 0000000098C4: 0B191917
	v_mul_f32_e32 v141, v23, v141                              // 0000000098C8: 0B1B1B17
	v_mul_f32_e32 v142, v23, v142                              // 0000000098CC: 0B1D1D17
	v_mul_f32_e32 v143, v23, v143                              // 0000000098D0: 0B1F1F17
	v_cvt_i32_f32_e32 v140, v140                               // 0000000098D4: 7F18118C
	v_cvt_i32_f32_e32 v141, v141                               // 0000000098D8: 7F1A118D
	v_cvt_i32_f32_e32 v142, v142                               // 0000000098DC: 7F1C118E
	v_cvt_i32_f32_e32 v143, v143                               // 0000000098E0: 7F1E118F
	v_perm_b32 v131, v141, v140, s53                           // 0000000098E4: D1ED0083 00D7198D
	v_perm_b32 v131, v142, v131, s54                           // 0000000098EC: D1ED0083 00DB078E
	v_perm_b32 v131, v143, v131, s55                           // 0000000098F4: D1ED0083 00DF078F
	v_mul_f32_e32 v144, v22, v144                              // 0000000098FC: 0B212116
	v_mul_f32_e32 v145, v22, v145                              // 000000009900: 0B232316
	v_mul_f32_e32 v146, v22, v146                              // 000000009904: 0B252516
	v_mul_f32_e32 v147, v22, v147                              // 000000009908: 0B272716
	v_cvt_i32_f32_e32 v144, v144                               // 00000000990C: 7F201190
	v_cvt_i32_f32_e32 v145, v145                               // 000000009910: 7F221191
	v_cvt_i32_f32_e32 v146, v146                               // 000000009914: 7F241192
	v_cvt_i32_f32_e32 v147, v147                               // 000000009918: 7F261193
	v_perm_b32 v132, v145, v144, s53                           // 00000000991C: D1ED0084 00D72191
	v_perm_b32 v132, v146, v132, s54                           // 000000009924: D1ED0084 00DB0992
	v_perm_b32 v132, v147, v132, s55                           // 00000000992C: D1ED0084 00DF0993
	v_mul_f32_e32 v148, v23, v148                              // 000000009934: 0B292917
	v_mul_f32_e32 v149, v23, v149                              // 000000009938: 0B2B2B17
	v_mul_f32_e32 v150, v23, v150                              // 00000000993C: 0B2D2D17
	v_mul_f32_e32 v151, v23, v151                              // 000000009940: 0B2F2F17
	v_cvt_i32_f32_e32 v148, v148                               // 000000009944: 7F281194
	v_cvt_i32_f32_e32 v149, v149                               // 000000009948: 7F2A1195
	v_cvt_i32_f32_e32 v150, v150                               // 00000000994C: 7F2C1196
	v_cvt_i32_f32_e32 v151, v151                               // 000000009950: 7F2E1197
	v_perm_b32 v133, v149, v148, s53                           // 000000009954: D1ED0085 00D72995
	v_perm_b32 v133, v150, v133, s54                           // 00000000995C: D1ED0085 00DB0B96
	v_perm_b32 v133, v151, v133, s55                           // 000000009964: D1ED0085 00DF0B97
	v_mul_f32_e32 v152, v22, v152                              // 00000000996C: 0B313116
	v_mul_f32_e32 v153, v22, v153                              // 000000009970: 0B333316
	v_mul_f32_e32 v154, v22, v154                              // 000000009974: 0B353516
	v_mul_f32_e32 v155, v22, v155                              // 000000009978: 0B373716
	v_cvt_i32_f32_e32 v152, v152                               // 00000000997C: 7F301198
	v_cvt_i32_f32_e32 v153, v153                               // 000000009980: 7F321199
	v_cvt_i32_f32_e32 v154, v154                               // 000000009984: 7F34119A
	v_cvt_i32_f32_e32 v155, v155                               // 000000009988: 7F36119B
	v_perm_b32 v134, v153, v152, s53                           // 00000000998C: D1ED0086 00D73199
	v_perm_b32 v134, v154, v134, s54                           // 000000009994: D1ED0086 00DB0D9A
	v_perm_b32 v134, v155, v134, s55                           // 00000000999C: D1ED0086 00DF0D9B
	v_mul_f32_e32 v156, v23, v156                              // 0000000099A4: 0B393917
	v_mul_f32_e32 v157, v23, v157                              // 0000000099A8: 0B3B3B17
	v_mul_f32_e32 v158, v23, v158                              // 0000000099AC: 0B3D3D17
	v_mul_f32_e32 v159, v23, v159                              // 0000000099B0: 0B3F3F17
	v_cvt_i32_f32_e32 v156, v156                               // 0000000099B4: 7F38119C
	v_cvt_i32_f32_e32 v157, v157                               // 0000000099B8: 7F3A119D
	v_cvt_i32_f32_e32 v158, v158                               // 0000000099BC: 7F3C119E
	v_cvt_i32_f32_e32 v159, v159                               // 0000000099C0: 7F3E119F
	v_perm_b32 v135, v157, v156, s53                           // 0000000099C4: D1ED0087 00D7399D
	v_perm_b32 v135, v158, v135, s54                           // 0000000099CC: D1ED0087 00DB0F9E
	v_perm_b32 v135, v159, v135, s55                           // 0000000099D4: D1ED0087 00DF0F9F
	v_mul_f32_e32 v160, v22, v160                              // 0000000099DC: 0B414116
	v_mul_f32_e32 v161, v22, v161                              // 0000000099E0: 0B434316
	v_mul_f32_e32 v162, v22, v162                              // 0000000099E4: 0B454516
	v_mul_f32_e32 v163, v22, v163                              // 0000000099E8: 0B474716
	v_cvt_i32_f32_e32 v160, v160                               // 0000000099EC: 7F4011A0
	v_cvt_i32_f32_e32 v161, v161                               // 0000000099F0: 7F4211A1
	v_cvt_i32_f32_e32 v162, v162                               // 0000000099F4: 7F4411A2
	v_cvt_i32_f32_e32 v163, v163                               // 0000000099F8: 7F4611A3
	v_perm_b32 v136, v161, v160, s53                           // 0000000099FC: D1ED0088 00D741A1
	v_perm_b32 v136, v162, v136, s54                           // 000000009A04: D1ED0088 00DB11A2
	v_perm_b32 v136, v163, v136, s55                           // 000000009A0C: D1ED0088 00DF11A3
	v_mul_f32_e32 v164, v23, v164                              // 000000009A14: 0B494917
	v_mul_f32_e32 v165, v23, v165                              // 000000009A18: 0B4B4B17
	v_mul_f32_e32 v166, v23, v166                              // 000000009A1C: 0B4D4D17
	v_mul_f32_e32 v167, v23, v167                              // 000000009A20: 0B4F4F17
	v_cvt_i32_f32_e32 v164, v164                               // 000000009A24: 7F4811A4
	v_cvt_i32_f32_e32 v165, v165                               // 000000009A28: 7F4A11A5
	v_cvt_i32_f32_e32 v166, v166                               // 000000009A2C: 7F4C11A6
	v_cvt_i32_f32_e32 v167, v167                               // 000000009A30: 7F4E11A7
	v_perm_b32 v137, v165, v164, s53                           // 000000009A34: D1ED0089 00D749A5
	v_perm_b32 v137, v166, v137, s54                           // 000000009A3C: D1ED0089 00DB13A6
	v_perm_b32 v137, v167, v137, s55                           // 000000009A44: D1ED0089 00DF13A7
	v_mul_f32_e32 v168, v22, v168                              // 000000009A4C: 0B515116
	v_mul_f32_e32 v169, v22, v169                              // 000000009A50: 0B535316
	v_mul_f32_e32 v170, v22, v170                              // 000000009A54: 0B555516
	v_mul_f32_e32 v171, v22, v171                              // 000000009A58: 0B575716
	v_cvt_i32_f32_e32 v168, v168                               // 000000009A5C: 7F5011A8
	v_cvt_i32_f32_e32 v169, v169                               // 000000009A60: 7F5211A9
	v_cvt_i32_f32_e32 v170, v170                               // 000000009A64: 7F5411AA
	v_cvt_i32_f32_e32 v171, v171                               // 000000009A68: 7F5611AB
	v_perm_b32 v138, v169, v168, s53                           // 000000009A6C: D1ED008A 00D751A9
	v_perm_b32 v138, v170, v138, s54                           // 000000009A74: D1ED008A 00DB15AA
	v_perm_b32 v138, v171, v138, s55                           // 000000009A7C: D1ED008A 00DF15AB
	v_mul_f32_e32 v172, v23, v172                              // 000000009A84: 0B595917
	v_mul_f32_e32 v173, v23, v173                              // 000000009A88: 0B5B5B17
	v_mul_f32_e32 v174, v23, v174                              // 000000009A8C: 0B5D5D17
	v_mul_f32_e32 v175, v23, v175                              // 000000009A90: 0B5F5F17
	v_cvt_i32_f32_e32 v172, v172                               // 000000009A94: 7F5811AC
	v_cvt_i32_f32_e32 v173, v173                               // 000000009A98: 7F5A11AD
	v_cvt_i32_f32_e32 v174, v174                               // 000000009A9C: 7F5C11AE
	v_cvt_i32_f32_e32 v175, v175                               // 000000009AA0: 7F5E11AF
	v_perm_b32 v139, v173, v172, s53                           // 000000009AA4: D1ED008B 00D759AD
	v_perm_b32 v139, v174, v139, s54                           // 000000009AAC: D1ED008B 00DB17AE
	v_perm_b32 v139, v175, v139, s55                           // 000000009AB4: D1ED008B 00DF17AF
	v_rcp_f32_e32 v24, v22                                     // 000000009ABC: 7E304516
	v_rcp_f32_e32 v25, v23                                     // 000000009AC0: 7E324517
	v_lshrrev_b32_e32 v50, 5, v0                               // 000000009AC4: 20640085
	v_lshlrev_b32_e32 v51, 5, v50                              // 000000009AC8: 24666485
	v_and_b32_e32 v50, 31, v0                                  // 000000009ACC: 2664009F
	v_lshrrev_b32_e32 v52, 4, v50                              // 000000009AD0: 20686484
	v_add_u32_e32 v51, v52, v51                                // 000000009AD4: 68666734
	v_and_b32_e32 v50, 15, v0                                  // 000000009AD8: 2664008F
	v_lshlrev_b32_e32 v50, 1, v50                              // 000000009ADC: 24646481
	v_add_u32_e32 v51, v50, v51                                // 000000009AE0: 68666732
	v_lshlrev_b32_e32 v50, 2, v51                              // 000000009AE4: 24646682
	s_mul_i32 s60, 0x100, s7                                   // 000000009AE8: 923C07FF 00000100
	v_add_u32_e64 v50, v50, s60                                // 000000009AF0: D1340032 00007932
	ds_write_b32 v50, v128 offset:18688                        // 000000009AF8: D81A4900 00008032
	ds_write_b32 v50, v129 offset:24832                        // 000000009B00: D81A6100 00008132
	ds_write_b32 v50, v130 offset:19712                        // 000000009B08: D81A4D00 00008232
	ds_write_b32 v50, v131 offset:25856                        // 000000009B10: D81A6500 00008332
	ds_write_b32 v50, v132 offset:20736                        // 000000009B18: D81A5100 00008432
	ds_write_b32 v50, v133 offset:26880                        // 000000009B20: D81A6900 00008532
	ds_write_b32 v50, v134 offset:21760                        // 000000009B28: D81A5500 00008632
	ds_write_b32 v50, v135 offset:27904                        // 000000009B30: D81A6D00 00008732
	ds_write_b32 v50, v136 offset:22784                        // 000000009B38: D81A5900 00008832
	ds_write_b32 v50, v137 offset:28928                        // 000000009B40: D81A7100 00008932
	ds_write_b32 v50, v138 offset:23808                        // 000000009B48: D81A5D00 00008A32
	ds_write_b32 v50, v139 offset:29952                        // 000000009B50: D81A7500 00008B32
	s_waitcnt lgkmcnt(0)                                       // 000000009B58: BF8CC07F
	s_barrier                                                  // 000000009B5C: BF8A0000
	v_lshrrev_b32_e32 v50, 4, v0                               // 000000009B60: 20640084
	v_lshlrev_b32_e32 v51, 6, v50                              // 000000009B64: 24666486
	v_and_b32_e32 v50, 15, v0                                  // 000000009B68: 2664008F
	v_lshlrev_b32_e32 v50, 1, v50                              // 000000009B6C: 24646481
	v_add_u32_e32 v51, v50, v51                                // 000000009B70: 68666732
	v_lshlrev_b32_e32 v50, 2, v51                              // 000000009B74: 24646682
	ds_read_b64 v[128:129], v50 offset:18688                   // 000000009B78: D8EC4900 80000032
	ds_read_b64 v[130:131], v50 offset:18816                   // 000000009B80: D8EC4980 82000032
	ds_read_b64 v[132:133], v50 offset:19712                   // 000000009B88: D8EC4D00 84000032
	ds_read_b64 v[134:135], v50 offset:19840                   // 000000009B90: D8EC4D80 86000032
	ds_read_b64 v[136:137], v50 offset:20736                   // 000000009B98: D8EC5100 88000032
	ds_read_b64 v[138:139], v50 offset:20864                   // 000000009BA0: D8EC5180 8A000032
	ds_read_b64 v[140:141], v50 offset:21760                   // 000000009BA8: D8EC5500 8C000032
	ds_read_b64 v[142:143], v50 offset:21888                   // 000000009BB0: D8EC5580 8E000032
	ds_read_b64 v[144:145], v50 offset:22784                   // 000000009BB8: D8EC5900 90000032
	ds_read_b64 v[146:147], v50 offset:22912                   // 000000009BC0: D8EC5980 92000032
	ds_read_b64 v[148:149], v50 offset:23808                   // 000000009BC8: D8EC5D00 94000032
	ds_read_b64 v[150:151], v50 offset:23936                   // 000000009BD0: D8EC5D80 96000032
	ds_read_b64 v[152:153], v50 offset:24832                   // 000000009BD8: D8EC6100 98000032
	ds_read_b64 v[154:155], v50 offset:24960                   // 000000009BE0: D8EC6180 9A000032
	ds_read_b64 v[156:157], v50 offset:25856                   // 000000009BE8: D8EC6500 9C000032
	ds_read_b64 v[158:159], v50 offset:25984                   // 000000009BF0: D8EC6580 9E000032
	ds_read_b64 v[160:161], v50 offset:26880                   // 000000009BF8: D8EC6900 A0000032
	ds_read_b64 v[162:163], v50 offset:27008                   // 000000009C00: D8EC6980 A2000032
	ds_read_b64 v[164:165], v50 offset:27904                   // 000000009C08: D8EC6D00 A4000032
	ds_read_b64 v[166:167], v50 offset:28032                   // 000000009C10: D8EC6D80 A6000032
	ds_read_b64 v[168:169], v50 offset:28928                   // 000000009C18: D8EC7100 A8000032
	ds_read_b64 v[170:171], v50 offset:29056                   // 000000009C20: D8EC7180 AA000032
	ds_read_b64 v[172:173], v50 offset:29952                   // 000000009C28: D8EC7500 AC000032
	ds_read_b64 v[174:175], v50 offset:30080                   // 000000009C30: D8EC7580 AE000032
	s_add_u32 s12, s56, s12                                    // 000000009C38: 800C0C38
	s_addc_u32 s13, 0, s13                                     // 000000009C3C: 820D0D80
	s_add_u32 s16, s79, s16                                    // 000000009C40: 8010104F
	s_addc_u32 s17, 0, s17                                     // 000000009C44: 82111180
	s_mov_b32 s80, 0                                           // 000000009C48: BED00080
	s_waitcnt vmcnt(0) expcnt(0) lgkmcnt(0)                    // 000000009C4C: BF8C0000

0000000000009c50 <label_1B94>:
	s_waitcnt vmcnt(37)                                        // 000000009C50: BF8C8F75
	s_barrier                                                  // 000000009C54: BF8A0000
	v_mfma_i32_16x16x32_i8 v[176:179], a[0:1], v[128:129], 0   // 000000009C58: D3D700B0 0A030100
	buffer_load_dwordx4 a[96:99], v40, s[12:15], 0 offen       // 000000009C60: E05C1000 80836028
	v_mfma_i32_16x16x32_i8 v[176:179], a[2:3], v[130:131], v[176:179]// 000000009C68: D3D700B0 0EC30502
	v_mfma_i32_16x16x32_i8 v[180:183], a[0:1], v[152:153], 0   // 000000009C70: D3D700B4 0A033100
	v_mfma_i32_16x16x32_i8 v[180:183], a[2:3], v[154:155], v[180:183]// 000000009C78: D3D700B4 0ED33502
	v_mfma_i32_16x16x32_i8 v[184:187], a[4:5], v[128:129], 0   // 000000009C80: D3D700B8 0A030104
	buffer_load_dwordx4 a[100:103], v41, s[12:15], 0 offen     // 000000009C88: E05C1000 80836429
	v_mfma_i32_16x16x32_i8 v[184:187], a[6:7], v[130:131], v[184:187]// 000000009C90: D3D700B8 0EE30506
	v_mfma_i32_16x16x32_i8 v[188:191], a[4:5], v[152:153], 0   // 000000009C98: D3D700BC 0A033104
	v_mfma_i32_16x16x32_i8 v[188:191], a[6:7], v[154:155], v[188:191]// 000000009CA0: D3D700BC 0EF33506
	v_mfma_i32_16x16x32_i8 v[192:195], a[8:9], v[128:129], 0   // 000000009CA8: D3D700C0 0A030108
	buffer_load_dwordx4 a[104:107], v42, s[12:15], 0 offen     // 000000009CB0: E05C1000 8083682A
	v_mfma_i32_16x16x32_i8 v[192:195], a[10:11], v[130:131], v[192:195]// 000000009CB8: D3D700C0 0F03050A
	v_mfma_i32_16x16x32_i8 v[196:199], a[8:9], v[152:153], 0   // 000000009CC0: D3D700C4 0A033108
	v_mfma_i32_16x16x32_i8 v[196:199], a[10:11], v[154:155], v[196:199]// 000000009CC8: D3D700C4 0F13350A
	v_mfma_i32_16x16x32_i8 v[200:203], a[12:13], v[128:129], 0 // 000000009CD0: D3D700C8 0A03010C
	buffer_load_dwordx4 a[108:111], v43, s[12:15], 0 offen     // 000000009CD8: E05C1000 80836C2B
	s_add_u32 s12, s78, s12                                    // 000000009CE0: 800C0C4E
	s_addc_u32 s13, 0, s13                                     // 000000009CE4: 820D0D80
	v_mfma_i32_16x16x32_i8 v[200:203], a[14:15], v[130:131], v[200:203]// 000000009CE8: D3D700C8 0F23050E
	v_mfma_i32_16x16x32_i8 v[204:207], a[12:13], v[152:153], 0 // 000000009CF0: D3D700CC 0A03310C
	v_mfma_i32_16x16x32_i8 v[204:207], a[14:15], v[154:155], v[204:207]// 000000009CF8: D3D700CC 0F33350E
	s_waitcnt vmcnt(37)                                        // 000000009D00: BF8C8F75
	v_mfma_i32_16x16x32_i8 v[176:179], a[16:17], v[132:133], v[176:179]// 000000009D04: D3D700B0 0EC30910
	buffer_load_dwordx4 a[112:115], v40, s[12:15], 0 offen     // 000000009D0C: E05C1000 80837028
	v_mfma_i32_16x16x32_i8 v[176:179], a[18:19], v[134:135], v[176:179]// 000000009D14: D3D700B0 0EC30D12
	v_mfma_i32_16x16x32_i8 v[180:183], a[16:17], v[156:157], v[180:183]// 000000009D1C: D3D700B4 0ED33910
	v_mfma_i32_16x16x32_i8 v[180:183], a[18:19], v[158:159], v[180:183]// 000000009D24: D3D700B4 0ED33D12
	v_mfma_i32_16x16x32_i8 v[184:187], a[20:21], v[132:133], v[184:187]// 000000009D2C: D3D700B8 0EE30914
	buffer_load_dwordx4 a[116:119], v41, s[12:15], 0 offen     // 000000009D34: E05C1000 80837429
	v_mfma_i32_16x16x32_i8 v[184:187], a[22:23], v[134:135], v[184:187]// 000000009D3C: D3D700B8 0EE30D16
	v_mfma_i32_16x16x32_i8 v[188:191], a[20:21], v[156:157], v[188:191]// 000000009D44: D3D700BC 0EF33914
	v_mfma_i32_16x16x32_i8 v[188:191], a[22:23], v[158:159], v[188:191]// 000000009D4C: D3D700BC 0EF33D16
	v_mfma_i32_16x16x32_i8 v[192:195], a[24:25], v[132:133], v[192:195]// 000000009D54: D3D700C0 0F030918
	buffer_load_dwordx4 a[120:123], v42, s[12:15], 0 offen     // 000000009D5C: E05C1000 8083782A
	v_mfma_i32_16x16x32_i8 v[192:195], a[26:27], v[134:135], v[192:195]// 000000009D64: D3D700C0 0F030D1A
	v_mfma_i32_16x16x32_i8 v[196:199], a[24:25], v[156:157], v[196:199]// 000000009D6C: D3D700C4 0F133918
	v_mfma_i32_16x16x32_i8 v[196:199], a[26:27], v[158:159], v[196:199]// 000000009D74: D3D700C4 0F133D1A
	v_mfma_i32_16x16x32_i8 v[200:203], a[28:29], v[132:133], v[200:203]// 000000009D7C: D3D700C8 0F23091C
	buffer_load_dwordx4 a[124:127], v43, s[12:15], 0 offen     // 000000009D84: E05C1000 80837C2B
	s_add_u32 s12, s78, s12                                    // 000000009D8C: 800C0C4E
	s_addc_u32 s13, 0, s13                                     // 000000009D90: 820D0D80
	v_mfma_i32_16x16x32_i8 v[200:203], a[30:31], v[134:135], v[200:203]// 000000009D94: D3D700C8 0F230D1E
	v_mfma_i32_16x16x32_i8 v[204:207], a[28:29], v[156:157], v[204:207]// 000000009D9C: D3D700CC 0F33391C
	v_mfma_i32_16x16x32_i8 v[204:207], a[30:31], v[158:159], v[204:207]// 000000009DA4: D3D700CC 0F333D1E
	s_waitcnt vmcnt(37)                                        // 000000009DAC: BF8C8F75
	v_mfma_i32_16x16x32_i8 v[176:179], a[32:33], v[136:137], v[176:179]// 000000009DB0: D3D700B0 0EC31120
	buffer_load_dwordx4 a[128:131], v40, s[12:15], 0 offen     // 000000009DB8: E05C1000 80838028
	v_mfma_i32_16x16x32_i8 v[176:179], a[34:35], v[138:139], v[176:179]// 000000009DC0: D3D700B0 0EC31522
	v_mfma_i32_16x16x32_i8 v[180:183], a[32:33], v[160:161], v[180:183]// 000000009DC8: D3D700B4 0ED34120
	v_mfma_i32_16x16x32_i8 v[180:183], a[34:35], v[162:163], v[180:183]// 000000009DD0: D3D700B4 0ED34522
	v_mfma_i32_16x16x32_i8 v[184:187], a[36:37], v[136:137], v[184:187]// 000000009DD8: D3D700B8 0EE31124
	buffer_load_dwordx4 a[132:135], v41, s[12:15], 0 offen     // 000000009DE0: E05C1000 80838429
	v_mfma_i32_16x16x32_i8 v[184:187], a[38:39], v[138:139], v[184:187]// 000000009DE8: D3D700B8 0EE31526
	v_mfma_i32_16x16x32_i8 v[188:191], a[36:37], v[160:161], v[188:191]// 000000009DF0: D3D700BC 0EF34124
	v_mfma_i32_16x16x32_i8 v[188:191], a[38:39], v[162:163], v[188:191]// 000000009DF8: D3D700BC 0EF34526
	v_mfma_i32_16x16x32_i8 v[192:195], a[40:41], v[136:137], v[192:195]// 000000009E00: D3D700C0 0F031128
	buffer_load_dwordx4 a[136:139], v42, s[12:15], 0 offen     // 000000009E08: E05C1000 8083882A
	v_mfma_i32_16x16x32_i8 v[192:195], a[42:43], v[138:139], v[192:195]// 000000009E10: D3D700C0 0F03152A
	v_mfma_i32_16x16x32_i8 v[196:199], a[40:41], v[160:161], v[196:199]// 000000009E18: D3D700C4 0F134128
	v_mfma_i32_16x16x32_i8 v[196:199], a[42:43], v[162:163], v[196:199]// 000000009E20: D3D700C4 0F13452A
	v_mfma_i32_16x16x32_i8 v[200:203], a[44:45], v[136:137], v[200:203]// 000000009E28: D3D700C8 0F23112C
	buffer_load_dwordx4 a[140:143], v43, s[12:15], 0 offen     // 000000009E30: E05C1000 80838C2B
	s_add_u32 s12, s78, s12                                    // 000000009E38: 800C0C4E
	s_addc_u32 s13, 0, s13                                     // 000000009E3C: 820D0D80
	v_mfma_i32_16x16x32_i8 v[200:203], a[46:47], v[138:139], v[200:203]// 000000009E40: D3D700C8 0F23152E
	v_mfma_i32_16x16x32_i8 v[204:207], a[44:45], v[160:161], v[204:207]// 000000009E48: D3D700CC 0F33412C
	v_mfma_i32_16x16x32_i8 v[204:207], a[46:47], v[162:163], v[204:207]// 000000009E50: D3D700CC 0F33452E
	s_waitcnt vmcnt(37)                                        // 000000009E58: BF8C8F75
	v_mfma_i32_16x16x32_i8 v[176:179], a[48:49], v[140:141], v[176:179]// 000000009E5C: D3D700B0 0EC31930
	buffer_load_dwordx4 a[144:147], v40, s[12:15], 0 offen     // 000000009E64: E05C1000 80839028
	v_mfma_i32_16x16x32_i8 v[176:179], a[50:51], v[142:143], v[176:179]// 000000009E6C: D3D700B0 0EC31D32
	v_mfma_i32_16x16x32_i8 v[180:183], a[48:49], v[164:165], v[180:183]// 000000009E74: D3D700B4 0ED34930
	v_mfma_i32_16x16x32_i8 v[180:183], a[50:51], v[166:167], v[180:183]// 000000009E7C: D3D700B4 0ED34D32
	v_mfma_i32_16x16x32_i8 v[184:187], a[52:53], v[140:141], v[184:187]// 000000009E84: D3D700B8 0EE31934
	buffer_load_dwordx4 a[148:151], v41, s[12:15], 0 offen     // 000000009E8C: E05C1000 80839429
	v_mfma_i32_16x16x32_i8 v[184:187], a[54:55], v[142:143], v[184:187]// 000000009E94: D3D700B8 0EE31D36
	v_mfma_i32_16x16x32_i8 v[188:191], a[52:53], v[164:165], v[188:191]// 000000009E9C: D3D700BC 0EF34934
	v_mfma_i32_16x16x32_i8 v[188:191], a[54:55], v[166:167], v[188:191]// 000000009EA4: D3D700BC 0EF34D36
	v_mfma_i32_16x16x32_i8 v[192:195], a[56:57], v[140:141], v[192:195]// 000000009EAC: D3D700C0 0F031938
	buffer_load_dwordx4 a[152:155], v42, s[12:15], 0 offen     // 000000009EB4: E05C1000 8083982A
	v_mfma_i32_16x16x32_i8 v[192:195], a[58:59], v[142:143], v[192:195]// 000000009EBC: D3D700C0 0F031D3A
	v_mfma_i32_16x16x32_i8 v[196:199], a[56:57], v[164:165], v[196:199]// 000000009EC4: D3D700C4 0F134938
	v_mfma_i32_16x16x32_i8 v[196:199], a[58:59], v[166:167], v[196:199]// 000000009ECC: D3D700C4 0F134D3A
	v_mfma_i32_16x16x32_i8 v[200:203], a[60:61], v[140:141], v[200:203]// 000000009ED4: D3D700C8 0F23193C
	buffer_load_dwordx4 a[156:159], v43, s[12:15], 0 offen     // 000000009EDC: E05C1000 80839C2B
	s_add_u32 s12, s78, s12                                    // 000000009EE4: 800C0C4E
	s_addc_u32 s13, 0, s13                                     // 000000009EE8: 820D0D80
	v_mfma_i32_16x16x32_i8 v[200:203], a[62:63], v[142:143], v[200:203]// 000000009EEC: D3D700C8 0F231D3E
	v_mfma_i32_16x16x32_i8 v[204:207], a[60:61], v[164:165], v[204:207]// 000000009EF4: D3D700CC 0F33493C
	v_mfma_i32_16x16x32_i8 v[204:207], a[62:63], v[166:167], v[204:207]// 000000009EFC: D3D700CC 0F334D3E
	s_waitcnt vmcnt(37)                                        // 000000009F04: BF8C8F75
	v_mfma_i32_16x16x32_i8 v[176:179], a[64:65], v[144:145], v[176:179]// 000000009F08: D3D700B0 0EC32140
	buffer_load_dwordx4 a[160:163], v40, s[12:15], 0 offen     // 000000009F10: E05C1000 8083A028
	v_mfma_i32_16x16x32_i8 v[176:179], a[66:67], v[146:147], v[176:179]// 000000009F18: D3D700B0 0EC32542
	v_mfma_i32_16x16x32_i8 v[180:183], a[64:65], v[168:169], v[180:183]// 000000009F20: D3D700B4 0ED35140
	v_mfma_i32_16x16x32_i8 v[180:183], a[66:67], v[170:171], v[180:183]// 000000009F28: D3D700B4 0ED35542
	v_mfma_i32_16x16x32_i8 v[184:187], a[68:69], v[144:145], v[184:187]// 000000009F30: D3D700B8 0EE32144
	buffer_load_dwordx4 a[164:167], v41, s[12:15], 0 offen     // 000000009F38: E05C1000 8083A429
	v_mfma_i32_16x16x32_i8 v[184:187], a[70:71], v[146:147], v[184:187]// 000000009F40: D3D700B8 0EE32546
	v_mfma_i32_16x16x32_i8 v[188:191], a[68:69], v[168:169], v[188:191]// 000000009F48: D3D700BC 0EF35144
	v_mfma_i32_16x16x32_i8 v[188:191], a[70:71], v[170:171], v[188:191]// 000000009F50: D3D700BC 0EF35546
	v_mfma_i32_16x16x32_i8 v[192:195], a[72:73], v[144:145], v[192:195]// 000000009F58: D3D700C0 0F032148
	buffer_load_dwordx4 a[168:171], v42, s[12:15], 0 offen     // 000000009F60: E05C1000 8083A82A
	v_mfma_i32_16x16x32_i8 v[192:195], a[74:75], v[146:147], v[192:195]// 000000009F68: D3D700C0 0F03254A
	v_mfma_i32_16x16x32_i8 v[196:199], a[72:73], v[168:169], v[196:199]// 000000009F70: D3D700C4 0F135148
	v_mfma_i32_16x16x32_i8 v[196:199], a[74:75], v[170:171], v[196:199]// 000000009F78: D3D700C4 0F13554A
	v_mfma_i32_16x16x32_i8 v[200:203], a[76:77], v[144:145], v[200:203]// 000000009F80: D3D700C8 0F23214C
	buffer_load_dwordx4 a[172:175], v43, s[12:15], 0 offen     // 000000009F88: E05C1000 8083AC2B
	s_add_u32 s12, s78, s12                                    // 000000009F90: 800C0C4E
	s_addc_u32 s13, 0, s13                                     // 000000009F94: 820D0D80
	v_mfma_i32_16x16x32_i8 v[200:203], a[78:79], v[146:147], v[200:203]// 000000009F98: D3D700C8 0F23254E
	v_mfma_i32_16x16x32_i8 v[204:207], a[76:77], v[168:169], v[204:207]// 000000009FA0: D3D700CC 0F33514C
	v_mfma_i32_16x16x32_i8 v[204:207], a[78:79], v[170:171], v[204:207]// 000000009FA8: D3D700CC 0F33554E
	s_waitcnt vmcnt(36)                                        // 000000009FB0: BF8C8F74
	v_mfma_i32_16x16x32_i8 v[176:179], a[80:81], v[148:149], v[176:179]// 000000009FB4: D3D700B0 0EC32950
	buffer_load_dwordx4 a[176:179], v40, s[12:15], 0 offen     // 000000009FBC: E05C1000 8083B028
	v_mfma_i32_16x16x32_i8 v[176:179], a[82:83], v[150:151], v[176:179]// 000000009FC4: D3D700B0 0EC32D52
	v_mfma_i32_16x16x32_i8 v[180:183], a[80:81], v[172:173], v[180:183]// 000000009FCC: D3D700B4 0ED35950
	buffer_load_dword v13, v5, s[16:19], 0 offen               // 000000009FD4: E0501000 80040D05
	v_mfma_i32_16x16x32_i8 v[180:183], a[82:83], v[174:175], v[180:183]// 000000009FDC: D3D700B4 0ED35D52
	v_mfma_i32_16x16x32_i8 v[184:187], a[84:85], v[148:149], v[184:187]// 000000009FE4: D3D700B8 0EE32954
	buffer_load_dwordx4 a[180:183], v41, s[12:15], 0 offen     // 000000009FEC: E05C1000 8083B429
	v_mfma_i32_16x16x32_i8 v[184:187], a[86:87], v[150:151], v[184:187]// 000000009FF4: D3D700B8 0EE32D56
	v_mfma_i32_16x16x32_i8 v[188:191], a[84:85], v[172:173], v[188:191]// 000000009FFC: D3D700BC 0EF35954
	v_mfma_i32_16x16x32_i8 v[188:191], a[86:87], v[174:175], v[188:191]// 00000000A004: D3D700BC 0EF35D56
	v_mfma_i32_16x16x32_i8 v[192:195], a[88:89], v[148:149], v[192:195]// 00000000A00C: D3D700C0 0F032958
	buffer_load_dwordx4 a[184:187], v42, s[12:15], 0 offen     // 00000000A014: E05C1000 8083B82A
	v_mfma_i32_16x16x32_i8 v[192:195], a[90:91], v[150:151], v[192:195]// 00000000A01C: D3D700C0 0F032D5A
	v_mfma_i32_16x16x32_i8 v[196:199], a[88:89], v[172:173], v[196:199]// 00000000A024: D3D700C4 0F135958
	v_mfma_i32_16x16x32_i8 v[196:199], a[90:91], v[174:175], v[196:199]// 00000000A02C: D3D700C4 0F135D5A
	v_mfma_i32_16x16x32_i8 v[200:203], a[92:93], v[148:149], v[200:203]// 00000000A034: D3D700C8 0F23295C
	buffer_load_dwordx4 a[188:191], v43, s[12:15], 0 offen     // 00000000A03C: E05C1000 8083BC2B
	v_mfma_i32_16x16x32_i8 v[200:203], a[94:95], v[150:151], v[200:203]// 00000000A044: D3D700C8 0F232D5E
	v_mfma_i32_16x16x32_i8 v[204:207], a[92:93], v[172:173], v[204:207]// 00000000A04C: D3D700CC 0F33595C
	v_mfma_i32_16x16x32_i8 v[204:207], a[94:95], v[174:175], v[204:207]// 00000000A054: D3D700CC 0F335D5E
	s_add_u32 s60, 0x200, s80                                  // 00000000A05C: 803C50FF 00000200
	s_cmp_lt_u32 s60, s81                                      // 00000000A064: BF0A513C
	s_cselect_b32 s56, s56, 0                                  // 00000000A068: 85388038
	s_cselect_b32 s78, s78, 0                                  // 00000000A06C: 854E804E
	s_cselect_b32 s79, s79, 0                                  // 00000000A070: 854F804F
	s_add_u32 s12, s56, s12                                    // 00000000A074: 800C0C38
	s_addc_u32 s13, 0, s13                                     // 00000000A078: 820D0D80
	s_add_u32 s16, s79, s16                                    // 00000000A07C: 8010104F
	s_addc_u32 s17, 0, s17                                     // 00000000A080: 82111180
	v_cvt_f32_i32_e32 v176, v176                               // 00000000A084: 7F600BB0
	v_cvt_f32_i32_e32 v177, v177                               // 00000000A088: 7F620BB1
	v_cvt_f32_i32_e32 v178, v178                               // 00000000A08C: 7F640BB2
	v_cvt_f32_i32_e32 v179, v179                               // 00000000A090: 7F660BB3
	v_mul_f32_e32 v176, v24, v176                              // 00000000A094: 0B616118
	v_mul_f32_e32 v177, v24, v177                              // 00000000A098: 0B636318
	v_mul_f32_e32 v178, v24, v178                              // 00000000A09C: 0B656518
	v_mul_f32_e32 v179, v24, v179                              // 00000000A0A0: 0B676718
	v_mul_f32_dpp v176, v12, v176 row_newbcast:0 row_mask:0xf bank_mask:0xf// 00000000A0A4: 0B6160FA FF01500C
	v_mul_f32_dpp v177, v12, v177 row_newbcast:1 row_mask:0xf bank_mask:0xf// 00000000A0AC: 0B6362FA FF01510C
	v_mul_f32_dpp v178, v12, v178 row_newbcast:2 row_mask:0xf bank_mask:0xf// 00000000A0B4: 0B6564FA FF01520C
	v_mul_f32_dpp v179, v12, v179 row_newbcast:3 row_mask:0xf bank_mask:0xf// 00000000A0BC: 0B6766FA FF01530C
	v_mul_f32_e32 v176, v20, v176                              // 00000000A0C4: 0B616114
	v_mul_f32_e32 v177, v20, v177                              // 00000000A0C8: 0B636314
	v_mul_f32_e32 v178, v20, v178                              // 00000000A0CC: 0B656514
	v_mul_f32_e32 v179, v20, v179                              // 00000000A0D0: 0B676714
	v_cvt_f32_i32_e32 v180, v180                               // 00000000A0D4: 7F680BB4
	v_cvt_f32_i32_e32 v181, v181                               // 00000000A0D8: 7F6A0BB5
	v_cvt_f32_i32_e32 v182, v182                               // 00000000A0DC: 7F6C0BB6
	v_cvt_f32_i32_e32 v183, v183                               // 00000000A0E0: 7F6E0BB7
	v_mul_f32_e32 v180, v25, v180                              // 00000000A0E4: 0B696919
	v_mul_f32_e32 v181, v25, v181                              // 00000000A0E8: 0B6B6B19
	v_mul_f32_e32 v182, v25, v182                              // 00000000A0EC: 0B6D6D19
	v_mul_f32_e32 v183, v25, v183                              // 00000000A0F0: 0B6F6F19
	v_mul_f32_dpp v180, v12, v180 row_newbcast:0 row_mask:0xf bank_mask:0xf// 00000000A0F4: 0B6968FA FF01500C
	v_mul_f32_dpp v181, v12, v181 row_newbcast:1 row_mask:0xf bank_mask:0xf// 00000000A0FC: 0B6B6AFA FF01510C
	v_mul_f32_dpp v182, v12, v182 row_newbcast:2 row_mask:0xf bank_mask:0xf// 00000000A104: 0B6D6CFA FF01520C
	v_mul_f32_dpp v183, v12, v183 row_newbcast:3 row_mask:0xf bank_mask:0xf// 00000000A10C: 0B6F6EFA FF01530C
	v_mul_f32_e32 v180, v21, v180                              // 00000000A114: 0B696915
	v_mul_f32_e32 v181, v21, v181                              // 00000000A118: 0B6B6B15
	v_mul_f32_e32 v182, v21, v182                              // 00000000A11C: 0B6D6D15
	v_mul_f32_e32 v183, v21, v183                              // 00000000A120: 0B6F6F15
	v_cvt_f32_i32_e32 v184, v184                               // 00000000A124: 7F700BB8
	v_cvt_f32_i32_e32 v185, v185                               // 00000000A128: 7F720BB9
	v_cvt_f32_i32_e32 v186, v186                               // 00000000A12C: 7F740BBA
	v_cvt_f32_i32_e32 v187, v187                               // 00000000A130: 7F760BBB
	v_mul_f32_e32 v184, v24, v184                              // 00000000A134: 0B717118
	v_mul_f32_e32 v185, v24, v185                              // 00000000A138: 0B737318
	v_mul_f32_e32 v186, v24, v186                              // 00000000A13C: 0B757518
	v_mul_f32_e32 v187, v24, v187                              // 00000000A140: 0B777718
	v_mul_f32_dpp v184, v12, v184 row_newbcast:4 row_mask:0xf bank_mask:0xf// 00000000A144: 0B7170FA FF01540C
	v_mul_f32_dpp v185, v12, v185 row_newbcast:5 row_mask:0xf bank_mask:0xf// 00000000A14C: 0B7372FA FF01550C
	v_mul_f32_dpp v186, v12, v186 row_newbcast:6 row_mask:0xf bank_mask:0xf// 00000000A154: 0B7574FA FF01560C
	v_mul_f32_dpp v187, v12, v187 row_newbcast:7 row_mask:0xf bank_mask:0xf// 00000000A15C: 0B7776FA FF01570C
	v_mul_f32_e32 v184, v20, v184                              // 00000000A164: 0B717114
	v_mul_f32_e32 v185, v20, v185                              // 00000000A168: 0B737314
	v_mul_f32_e32 v186, v20, v186                              // 00000000A16C: 0B757514
	v_mul_f32_e32 v187, v20, v187                              // 00000000A170: 0B777714
	v_cvt_f32_i32_e32 v188, v188                               // 00000000A174: 7F780BBC
	v_cvt_f32_i32_e32 v189, v189                               // 00000000A178: 7F7A0BBD
	v_cvt_f32_i32_e32 v190, v190                               // 00000000A17C: 7F7C0BBE
	v_cvt_f32_i32_e32 v191, v191                               // 00000000A180: 7F7E0BBF
	v_mul_f32_e32 v188, v25, v188                              // 00000000A184: 0B797919
	v_mul_f32_e32 v189, v25, v189                              // 00000000A188: 0B7B7B19
	v_mul_f32_e32 v190, v25, v190                              // 00000000A18C: 0B7D7D19
	v_mul_f32_e32 v191, v25, v191                              // 00000000A190: 0B7F7F19
	v_mul_f32_dpp v188, v12, v188 row_newbcast:4 row_mask:0xf bank_mask:0xf// 00000000A194: 0B7978FA FF01540C
	v_mul_f32_dpp v189, v12, v189 row_newbcast:5 row_mask:0xf bank_mask:0xf// 00000000A19C: 0B7B7AFA FF01550C
	v_mul_f32_dpp v190, v12, v190 row_newbcast:6 row_mask:0xf bank_mask:0xf// 00000000A1A4: 0B7D7CFA FF01560C
	v_mul_f32_dpp v191, v12, v191 row_newbcast:7 row_mask:0xf bank_mask:0xf// 00000000A1AC: 0B7F7EFA FF01570C
	v_mul_f32_e32 v188, v21, v188                              // 00000000A1B4: 0B797915
	v_mul_f32_e32 v189, v21, v189                              // 00000000A1B8: 0B7B7B15
	v_mul_f32_e32 v190, v21, v190                              // 00000000A1BC: 0B7D7D15
	v_mul_f32_e32 v191, v21, v191                              // 00000000A1C0: 0B7F7F15
	v_cvt_f32_i32_e32 v192, v192                               // 00000000A1C4: 7F800BC0
	v_cvt_f32_i32_e32 v193, v193                               // 00000000A1C8: 7F820BC1
	v_cvt_f32_i32_e32 v194, v194                               // 00000000A1CC: 7F840BC2
	v_cvt_f32_i32_e32 v195, v195                               // 00000000A1D0: 7F860BC3
	v_mul_f32_e32 v192, v24, v192                              // 00000000A1D4: 0B818118
	v_mul_f32_e32 v193, v24, v193                              // 00000000A1D8: 0B838318
	v_mul_f32_e32 v194, v24, v194                              // 00000000A1DC: 0B858518
	v_mul_f32_e32 v195, v24, v195                              // 00000000A1E0: 0B878718
	v_mul_f32_dpp v192, v12, v192 row_newbcast:8 row_mask:0xf bank_mask:0xf// 00000000A1E4: 0B8180FA FF01580C
	v_mul_f32_dpp v193, v12, v193 row_newbcast:9 row_mask:0xf bank_mask:0xf// 00000000A1EC: 0B8382FA FF01590C
	v_mul_f32_dpp v194, v12, v194 row_newbcast:10 row_mask:0xf bank_mask:0xf// 00000000A1F4: 0B8584FA FF015A0C
	v_mul_f32_dpp v195, v12, v195 row_newbcast:11 row_mask:0xf bank_mask:0xf// 00000000A1FC: 0B8786FA FF015B0C
	v_mul_f32_e32 v192, v20, v192                              // 00000000A204: 0B818114
	v_mul_f32_e32 v193, v20, v193                              // 00000000A208: 0B838314
	v_mul_f32_e32 v194, v20, v194                              // 00000000A20C: 0B858514
	v_mul_f32_e32 v195, v20, v195                              // 00000000A210: 0B878714
	v_cvt_f32_i32_e32 v196, v196                               // 00000000A214: 7F880BC4
	v_cvt_f32_i32_e32 v197, v197                               // 00000000A218: 7F8A0BC5
	v_cvt_f32_i32_e32 v198, v198                               // 00000000A21C: 7F8C0BC6
	v_cvt_f32_i32_e32 v199, v199                               // 00000000A220: 7F8E0BC7
	v_mul_f32_e32 v196, v25, v196                              // 00000000A224: 0B898919
	v_mul_f32_e32 v197, v25, v197                              // 00000000A228: 0B8B8B19
	v_mul_f32_e32 v198, v25, v198                              // 00000000A22C: 0B8D8D19
	v_mul_f32_e32 v199, v25, v199                              // 00000000A230: 0B8F8F19
	v_mul_f32_dpp v196, v12, v196 row_newbcast:8 row_mask:0xf bank_mask:0xf// 00000000A234: 0B8988FA FF01580C
	v_mul_f32_dpp v197, v12, v197 row_newbcast:9 row_mask:0xf bank_mask:0xf// 00000000A23C: 0B8B8AFA FF01590C
	v_mul_f32_dpp v198, v12, v198 row_newbcast:10 row_mask:0xf bank_mask:0xf// 00000000A244: 0B8D8CFA FF015A0C
	v_mul_f32_dpp v199, v12, v199 row_newbcast:11 row_mask:0xf bank_mask:0xf// 00000000A24C: 0B8F8EFA FF015B0C
	v_mul_f32_e32 v196, v21, v196                              // 00000000A254: 0B898915
	v_mul_f32_e32 v197, v21, v197                              // 00000000A258: 0B8B8B15
	v_mul_f32_e32 v198, v21, v198                              // 00000000A25C: 0B8D8D15
	v_mul_f32_e32 v199, v21, v199                              // 00000000A260: 0B8F8F15
	v_cvt_f32_i32_e32 v200, v200                               // 00000000A264: 7F900BC8
	v_cvt_f32_i32_e32 v201, v201                               // 00000000A268: 7F920BC9
	v_cvt_f32_i32_e32 v202, v202                               // 00000000A26C: 7F940BCA
	v_cvt_f32_i32_e32 v203, v203                               // 00000000A270: 7F960BCB
	v_mul_f32_e32 v200, v24, v200                              // 00000000A274: 0B919118
	v_mul_f32_e32 v201, v24, v201                              // 00000000A278: 0B939318
	v_mul_f32_e32 v202, v24, v202                              // 00000000A27C: 0B959518
	v_mul_f32_e32 v203, v24, v203                              // 00000000A280: 0B979718
	v_mul_f32_dpp v200, v12, v200 row_newbcast:12 row_mask:0xf bank_mask:0xf// 00000000A284: 0B9190FA FF015C0C
	v_mul_f32_dpp v201, v12, v201 row_newbcast:13 row_mask:0xf bank_mask:0xf// 00000000A28C: 0B9392FA FF015D0C
	v_mul_f32_dpp v202, v12, v202 row_newbcast:14 row_mask:0xf bank_mask:0xf// 00000000A294: 0B9594FA FF015E0C
	v_mul_f32_dpp v203, v12, v203 row_newbcast:15 row_mask:0xf bank_mask:0xf// 00000000A29C: 0B9796FA FF015F0C
	v_mul_f32_e32 v200, v20, v200                              // 00000000A2A4: 0B919114
	v_mul_f32_e32 v201, v20, v201                              // 00000000A2A8: 0B939314
	v_mul_f32_e32 v202, v20, v202                              // 00000000A2AC: 0B959514
	v_mul_f32_e32 v203, v20, v203                              // 00000000A2B0: 0B979714
	v_cvt_f32_i32_e32 v204, v204                               // 00000000A2B4: 7F980BCC
	v_cvt_f32_i32_e32 v205, v205                               // 00000000A2B8: 7F9A0BCD
	v_cvt_f32_i32_e32 v206, v206                               // 00000000A2BC: 7F9C0BCE
	v_cvt_f32_i32_e32 v207, v207                               // 00000000A2C0: 7F9E0BCF
	v_mul_f32_e32 v204, v25, v204                              // 00000000A2C4: 0B999919
	v_mul_f32_e32 v205, v25, v205                              // 00000000A2C8: 0B9B9B19
	v_mul_f32_e32 v206, v25, v206                              // 00000000A2CC: 0B9D9D19
	v_mul_f32_e32 v207, v25, v207                              // 00000000A2D0: 0B9F9F19
	v_mul_f32_dpp v204, v12, v204 row_newbcast:12 row_mask:0xf bank_mask:0xf// 00000000A2D4: 0B9998FA FF015C0C
	v_mul_f32_dpp v205, v12, v205 row_newbcast:13 row_mask:0xf bank_mask:0xf// 00000000A2DC: 0B9B9AFA FF015D0C
	v_mul_f32_dpp v206, v12, v206 row_newbcast:14 row_mask:0xf bank_mask:0xf// 00000000A2E4: 0B9D9CFA FF015E0C
	v_mul_f32_dpp v207, v12, v207 row_newbcast:15 row_mask:0xf bank_mask:0xf// 00000000A2EC: 0B9F9EFA FF015F0C
	v_mul_f32_e32 v204, v21, v204                              // 00000000A2F4: 0B999915
	v_mul_f32_e32 v205, v21, v205                              // 00000000A2F8: 0B9B9B15
	v_mul_f32_e32 v206, v21, v206                              // 00000000A2FC: 0B9D9D15
	v_mul_f32_e32 v207, v21, v207                              // 00000000A300: 0B9F9F15
	v_cvt_pkrtz_f16_f32 v176, v176, v177                       // 00000000A304: D29600B0 000363B0
	v_cvt_pkrtz_f16_f32 v177, v178, v179                       // 00000000A30C: D29600B1 000367B2
	v_cvt_pkrtz_f16_f32 v178, v180, v181                       // 00000000A314: D29600B2 00036BB4
	v_cvt_pkrtz_f16_f32 v179, v182, v183                       // 00000000A31C: D29600B3 00036FB6
	v_cvt_pkrtz_f16_f32 v180, v184, v185                       // 00000000A324: D29600B4 000373B8
	v_cvt_pkrtz_f16_f32 v181, v186, v187                       // 00000000A32C: D29600B5 000377BA
	v_cvt_pkrtz_f16_f32 v182, v188, v189                       // 00000000A334: D29600B6 00037BBC
	v_cvt_pkrtz_f16_f32 v183, v190, v191                       // 00000000A33C: D29600B7 00037FBE
	v_cvt_pkrtz_f16_f32 v184, v192, v193                       // 00000000A344: D29600B8 000383C0
	v_cvt_pkrtz_f16_f32 v185, v194, v195                       // 00000000A34C: D29600B9 000387C2
	v_cvt_pkrtz_f16_f32 v186, v196, v197                       // 00000000A354: D29600BA 00038BC4
	v_cvt_pkrtz_f16_f32 v187, v198, v199                       // 00000000A35C: D29600BB 00038FC6
	v_cvt_pkrtz_f16_f32 v188, v200, v201                       // 00000000A364: D29600BC 000393C8
	v_cvt_pkrtz_f16_f32 v189, v202, v203                       // 00000000A36C: D29600BD 000397CA
	v_cvt_pkrtz_f16_f32 v190, v204, v205                       // 00000000A374: D29600BE 00039BCC
	v_cvt_pkrtz_f16_f32 v191, v206, v207                       // 00000000A37C: D29600BF 00039FCE
	ds_write_b64 v3, v[176:177] offset:30976                   // 00000000A384: D89A7900 0000B003
	ds_write_b64 v3, v[178:179] offset:39680                   // 00000000A38C: D89A9B00 0000B203
	ds_write_b64 v3, v[180:181] offset:33152                   // 00000000A394: D89A8180 0000B403
	ds_write_b64 v3, v[182:183] offset:41856                   // 00000000A39C: D89AA380 0000B603
	ds_write_b64 v3, v[184:185] offset:35328                   // 00000000A3A4: D89A8A00 0000B803
	ds_write_b64 v3, v[186:187] offset:44032                   // 00000000A3AC: D89AAC00 0000BA03
	ds_write_b64 v3, v[188:189] offset:37504                   // 00000000A3B4: D89A9280 0000BC03
	ds_write_b64 v3, v[190:191] offset:46208                   // 00000000A3BC: D89AB480 0000BE03
	s_waitcnt lgkmcnt(0)                                       // 00000000A3C4: BF8CC07F
	s_barrier                                                  // 00000000A3C8: BF8A0000
	ds_read_b32 v64, v4 offset:30976                           // 00000000A3CC: D86C7900 40000004
	ds_read_b32 v65, v4 offset:35328                           // 00000000A3D4: D86C8A00 41000004
	ds_read_b32 v66, v4 offset:31008                           // 00000000A3DC: D86C7920 42000004
	ds_read_b32 v67, v4 offset:35360                           // 00000000A3E4: D86C8A20 43000004
	ds_read_b32 v68, v4 offset:31040                           // 00000000A3EC: D86C7940 44000004
	ds_read_b32 v69, v4 offset:35392                           // 00000000A3F4: D86C8A40 45000004
	ds_read_b32 v70, v4 offset:31072                           // 00000000A3FC: D86C7960 46000004
	ds_read_b32 v71, v4 offset:35424                           // 00000000A404: D86C8A60 47000004
	ds_read_b32 v72, v4 offset:39680                           // 00000000A40C: D86C9B00 48000004
	ds_read_b32 v73, v4 offset:44032                           // 00000000A414: D86CAC00 49000004
	ds_read_b32 v74, v4 offset:39712                           // 00000000A41C: D86C9B20 4A000004
	ds_read_b32 v75, v4 offset:44064                           // 00000000A424: D86CAC20 4B000004
	ds_read_b32 v76, v4 offset:39744                           // 00000000A42C: D86C9B40 4C000004
	ds_read_b32 v77, v4 offset:44096                           // 00000000A434: D86CAC40 4D000004
	ds_read_b32 v78, v4 offset:39776                           // 00000000A43C: D86C9B60 4E000004
	ds_read_b32 v79, v4 offset:44128                           // 00000000A444: D86CAC60 4F000004
	s_waitcnt lgkmcnt(0)                                       // 00000000A44C: BF8CC07F
	s_mov_b64 exec, s[20:21]                                   // 00000000A450: BEFE0114
	global_atomic_pk_add_f16 v80, v64, s[8:9]                  // 00000000A454: DD388000 00084050
	s_mov_b64 exec, s[36:37]                                   // 00000000A45C: BEFE0124
	s_mov_b64 exec, s[20:21]                                   // 00000000A460: BEFE0114
	global_atomic_pk_add_f16 v80, v65, s[8:9] offset:256       // 00000000A464: DD388100 00084150
	s_mov_b64 exec, s[36:37]                                   // 00000000A46C: BEFE0124
	s_mov_b64 exec, s[22:23]                                   // 00000000A470: BEFE0116
	global_atomic_pk_add_f16 v82, v66, s[8:9]                  // 00000000A474: DD388000 00084252
	s_mov_b64 exec, s[36:37]                                   // 00000000A47C: BEFE0124
	s_mov_b64 exec, s[22:23]                                   // 00000000A480: BEFE0116
	global_atomic_pk_add_f16 v82, v67, s[8:9] offset:256       // 00000000A484: DD388100 00084352
	s_mov_b64 exec, s[36:37]                                   // 00000000A48C: BEFE0124
	s_mov_b64 exec, s[24:25]                                   // 00000000A490: BEFE0118
	global_atomic_pk_add_f16 v84, v68, s[8:9]                  // 00000000A494: DD388000 00084454
	s_mov_b64 exec, s[36:37]                                   // 00000000A49C: BEFE0124
	s_mov_b64 exec, s[24:25]                                   // 00000000A4A0: BEFE0118
	global_atomic_pk_add_f16 v84, v69, s[8:9] offset:256       // 00000000A4A4: DD388100 00084554
	s_mov_b64 exec, s[36:37]                                   // 00000000A4AC: BEFE0124
	s_mov_b64 exec, s[26:27]                                   // 00000000A4B0: BEFE011A
	global_atomic_pk_add_f16 v86, v70, s[8:9]                  // 00000000A4B4: DD388000 00084656
	s_mov_b64 exec, s[36:37]                                   // 00000000A4BC: BEFE0124
	s_mov_b64 exec, s[26:27]                                   // 00000000A4C0: BEFE011A
	global_atomic_pk_add_f16 v86, v71, s[8:9] offset:256       // 00000000A4C4: DD388100 00084756
	s_mov_b64 exec, s[36:37]                                   // 00000000A4CC: BEFE0124
	s_mov_b64 exec, s[28:29]                                   // 00000000A4D0: BEFE011C
	global_atomic_pk_add_f16 v88, v72, s[8:9]                  // 00000000A4D4: DD388000 00084858
	s_mov_b64 exec, s[36:37]                                   // 00000000A4DC: BEFE0124
	s_mov_b64 exec, s[28:29]                                   // 00000000A4E0: BEFE011C
	global_atomic_pk_add_f16 v88, v73, s[8:9] offset:256       // 00000000A4E4: DD388100 00084958
	s_mov_b64 exec, s[36:37]                                   // 00000000A4EC: BEFE0124
	s_mov_b64 exec, s[30:31]                                   // 00000000A4F0: BEFE011E
	global_atomic_pk_add_f16 v90, v74, s[8:9]                  // 00000000A4F4: DD388000 00084A5A
	s_mov_b64 exec, s[36:37]                                   // 00000000A4FC: BEFE0124
	s_mov_b64 exec, s[30:31]                                   // 00000000A500: BEFE011E
	global_atomic_pk_add_f16 v90, v75, s[8:9] offset:256       // 00000000A504: DD388100 00084B5A
	s_mov_b64 exec, s[36:37]                                   // 00000000A50C: BEFE0124
	s_mov_b64 exec, s[32:33]                                   // 00000000A510: BEFE0120
	global_atomic_pk_add_f16 v92, v76, s[8:9]                  // 00000000A514: DD388000 00084C5C
	s_mov_b64 exec, s[36:37]                                   // 00000000A51C: BEFE0124
	s_mov_b64 exec, s[32:33]                                   // 00000000A520: BEFE0120
	global_atomic_pk_add_f16 v92, v77, s[8:9] offset:256       // 00000000A524: DD388100 00084D5C
	s_mov_b64 exec, s[36:37]                                   // 00000000A52C: BEFE0124
	s_mov_b64 exec, s[34:35]                                   // 00000000A530: BEFE0122
	global_atomic_pk_add_f16 v94, v78, s[8:9]                  // 00000000A534: DD388000 00084E5E
	s_mov_b64 exec, s[36:37]                                   // 00000000A53C: BEFE0124
	s_mov_b64 exec, s[34:35]                                   // 00000000A540: BEFE0122
	global_atomic_pk_add_f16 v94, v79, s[8:9] offset:256       // 00000000A544: DD388100 00084F5E
	s_mov_b64 exec, s[36:37]                                   // 00000000A54C: BEFE0124
	s_add_u32 s8, s59, s8                                      // 00000000A550: 8008083B
	s_addc_u32 s9, 0, s9                                       // 00000000A554: 82090980
	s_addk_i32 s80, 0x100                                      // 00000000A558: B7500100
	s_cmp_lt_i32 s80, s81                                      // 00000000A55C: BF045150
	s_cbranch_scc0 label_1170                                  // 00000000A560: BF84F397
	s_waitcnt vmcnt(37)                                        // 00000000A564: BF8C8F75
	s_barrier                                                  // 00000000A568: BF8A0000
	v_mfma_i32_16x16x32_i8 v[208:211], a[96:97], v[128:129], 0 // 00000000A56C: D3D700D0 0A030160
	buffer_load_dwordx4 a[0:3], v40, s[12:15], 0 offen         // 00000000A574: E05C1000 80830028
	v_mfma_i32_16x16x32_i8 v[208:211], a[98:99], v[130:131], v[208:211]// 00000000A57C: D3D700D0 0F430562
	v_mfma_i32_16x16x32_i8 v[212:215], a[96:97], v[152:153], 0 // 00000000A584: D3D700D4 0A033160
	v_mfma_i32_16x16x32_i8 v[212:215], a[98:99], v[154:155], v[212:215]// 00000000A58C: D3D700D4 0F533562
	v_mfma_i32_16x16x32_i8 v[216:219], a[100:101], v[128:129], 0// 00000000A594: D3D700D8 0A030164
	buffer_load_dwordx4 a[4:7], v41, s[12:15], 0 offen         // 00000000A59C: E05C1000 80830429
	v_mfma_i32_16x16x32_i8 v[216:219], a[102:103], v[130:131], v[216:219]// 00000000A5A4: D3D700D8 0F630566
	v_mfma_i32_16x16x32_i8 v[220:223], a[100:101], v[152:153], 0// 00000000A5AC: D3D700DC 0A033164
	v_mfma_i32_16x16x32_i8 v[220:223], a[102:103], v[154:155], v[220:223]// 00000000A5B4: D3D700DC 0F733566
	v_mfma_i32_16x16x32_i8 v[224:227], a[104:105], v[128:129], 0// 00000000A5BC: D3D700E0 0A030168
	buffer_load_dwordx4 a[8:11], v42, s[12:15], 0 offen        // 00000000A5C4: E05C1000 8083082A
	v_mfma_i32_16x16x32_i8 v[224:227], a[106:107], v[130:131], v[224:227]// 00000000A5CC: D3D700E0 0F83056A
	v_mfma_i32_16x16x32_i8 v[228:231], a[104:105], v[152:153], 0// 00000000A5D4: D3D700E4 0A033168
	v_mfma_i32_16x16x32_i8 v[228:231], a[106:107], v[154:155], v[228:231]// 00000000A5DC: D3D700E4 0F93356A
	v_mfma_i32_16x16x32_i8 v[232:235], a[108:109], v[128:129], 0// 00000000A5E4: D3D700E8 0A03016C
	buffer_load_dwordx4 a[12:15], v43, s[12:15], 0 offen       // 00000000A5EC: E05C1000 80830C2B
	s_add_u32 s12, s78, s12                                    // 00000000A5F4: 800C0C4E
	s_addc_u32 s13, 0, s13                                     // 00000000A5F8: 820D0D80
	v_mfma_i32_16x16x32_i8 v[232:235], a[110:111], v[130:131], v[232:235]// 00000000A5FC: D3D700E8 0FA3056E
	v_mfma_i32_16x16x32_i8 v[236:239], a[108:109], v[152:153], 0// 00000000A604: D3D700EC 0A03316C
	v_mfma_i32_16x16x32_i8 v[236:239], a[110:111], v[154:155], v[236:239]// 00000000A60C: D3D700EC 0FB3356E
	s_waitcnt vmcnt(37)                                        // 00000000A614: BF8C8F75
	v_mfma_i32_16x16x32_i8 v[208:211], a[112:113], v[132:133], v[208:211]// 00000000A618: D3D700D0 0F430970
	buffer_load_dwordx4 a[16:19], v40, s[12:15], 0 offen       // 00000000A620: E05C1000 80831028
	v_mfma_i32_16x16x32_i8 v[208:211], a[114:115], v[134:135], v[208:211]// 00000000A628: D3D700D0 0F430D72
	v_mfma_i32_16x16x32_i8 v[212:215], a[112:113], v[156:157], v[212:215]// 00000000A630: D3D700D4 0F533970
	v_mfma_i32_16x16x32_i8 v[212:215], a[114:115], v[158:159], v[212:215]// 00000000A638: D3D700D4 0F533D72
	v_mfma_i32_16x16x32_i8 v[216:219], a[116:117], v[132:133], v[216:219]// 00000000A640: D3D700D8 0F630974
	buffer_load_dwordx4 a[20:23], v41, s[12:15], 0 offen       // 00000000A648: E05C1000 80831429
	v_mfma_i32_16x16x32_i8 v[216:219], a[118:119], v[134:135], v[216:219]// 00000000A650: D3D700D8 0F630D76
	v_mfma_i32_16x16x32_i8 v[220:223], a[116:117], v[156:157], v[220:223]// 00000000A658: D3D700DC 0F733974
	v_mfma_i32_16x16x32_i8 v[220:223], a[118:119], v[158:159], v[220:223]// 00000000A660: D3D700DC 0F733D76
	v_mfma_i32_16x16x32_i8 v[224:227], a[120:121], v[132:133], v[224:227]// 00000000A668: D3D700E0 0F830978
	buffer_load_dwordx4 a[24:27], v42, s[12:15], 0 offen       // 00000000A670: E05C1000 8083182A
	v_mfma_i32_16x16x32_i8 v[224:227], a[122:123], v[134:135], v[224:227]// 00000000A678: D3D700E0 0F830D7A
	v_mfma_i32_16x16x32_i8 v[228:231], a[120:121], v[156:157], v[228:231]// 00000000A680: D3D700E4 0F933978
	v_mfma_i32_16x16x32_i8 v[228:231], a[122:123], v[158:159], v[228:231]// 00000000A688: D3D700E4 0F933D7A
	v_mfma_i32_16x16x32_i8 v[232:235], a[124:125], v[132:133], v[232:235]// 00000000A690: D3D700E8 0FA3097C
	buffer_load_dwordx4 a[28:31], v43, s[12:15], 0 offen       // 00000000A698: E05C1000 80831C2B
	s_add_u32 s12, s78, s12                                    // 00000000A6A0: 800C0C4E
	s_addc_u32 s13, 0, s13                                     // 00000000A6A4: 820D0D80
	v_mfma_i32_16x16x32_i8 v[232:235], a[126:127], v[134:135], v[232:235]// 00000000A6A8: D3D700E8 0FA30D7E
	v_mfma_i32_16x16x32_i8 v[236:239], a[124:125], v[156:157], v[236:239]// 00000000A6B0: D3D700EC 0FB3397C
	v_mfma_i32_16x16x32_i8 v[236:239], a[126:127], v[158:159], v[236:239]// 00000000A6B8: D3D700EC 0FB33D7E
	s_waitcnt vmcnt(37)                                        // 00000000A6C0: BF8C8F75
	v_mfma_i32_16x16x32_i8 v[208:211], a[128:129], v[136:137], v[208:211]// 00000000A6C4: D3D700D0 0F431180
	buffer_load_dwordx4 a[32:35], v40, s[12:15], 0 offen       // 00000000A6CC: E05C1000 80832028
	v_mfma_i32_16x16x32_i8 v[208:211], a[130:131], v[138:139], v[208:211]// 00000000A6D4: D3D700D0 0F431582
	v_mfma_i32_16x16x32_i8 v[212:215], a[128:129], v[160:161], v[212:215]// 00000000A6DC: D3D700D4 0F534180
	v_mfma_i32_16x16x32_i8 v[212:215], a[130:131], v[162:163], v[212:215]// 00000000A6E4: D3D700D4 0F534582
	v_mfma_i32_16x16x32_i8 v[216:219], a[132:133], v[136:137], v[216:219]// 00000000A6EC: D3D700D8 0F631184
	buffer_load_dwordx4 a[36:39], v41, s[12:15], 0 offen       // 00000000A6F4: E05C1000 80832429
	v_mfma_i32_16x16x32_i8 v[216:219], a[134:135], v[138:139], v[216:219]// 00000000A6FC: D3D700D8 0F631586
	v_mfma_i32_16x16x32_i8 v[220:223], a[132:133], v[160:161], v[220:223]// 00000000A704: D3D700DC 0F734184
	v_mfma_i32_16x16x32_i8 v[220:223], a[134:135], v[162:163], v[220:223]// 00000000A70C: D3D700DC 0F734586
	v_mfma_i32_16x16x32_i8 v[224:227], a[136:137], v[136:137], v[224:227]// 00000000A714: D3D700E0 0F831188
	buffer_load_dwordx4 a[40:43], v42, s[12:15], 0 offen       // 00000000A71C: E05C1000 8083282A
	v_mfma_i32_16x16x32_i8 v[224:227], a[138:139], v[138:139], v[224:227]// 00000000A724: D3D700E0 0F83158A
	v_mfma_i32_16x16x32_i8 v[228:231], a[136:137], v[160:161], v[228:231]// 00000000A72C: D3D700E4 0F934188
	v_mfma_i32_16x16x32_i8 v[228:231], a[138:139], v[162:163], v[228:231]// 00000000A734: D3D700E4 0F93458A
	v_mfma_i32_16x16x32_i8 v[232:235], a[140:141], v[136:137], v[232:235]// 00000000A73C: D3D700E8 0FA3118C
	buffer_load_dwordx4 a[44:47], v43, s[12:15], 0 offen       // 00000000A744: E05C1000 80832C2B
	s_add_u32 s12, s78, s12                                    // 00000000A74C: 800C0C4E
	s_addc_u32 s13, 0, s13                                     // 00000000A750: 820D0D80
	v_mfma_i32_16x16x32_i8 v[232:235], a[142:143], v[138:139], v[232:235]// 00000000A754: D3D700E8 0FA3158E
	v_mfma_i32_16x16x32_i8 v[236:239], a[140:141], v[160:161], v[236:239]// 00000000A75C: D3D700EC 0FB3418C
	v_mfma_i32_16x16x32_i8 v[236:239], a[142:143], v[162:163], v[236:239]// 00000000A764: D3D700EC 0FB3458E
	s_waitcnt vmcnt(37)                                        // 00000000A76C: BF8C8F75
	v_mfma_i32_16x16x32_i8 v[208:211], a[144:145], v[140:141], v[208:211]// 00000000A770: D3D700D0 0F431990
	buffer_load_dwordx4 a[48:51], v40, s[12:15], 0 offen       // 00000000A778: E05C1000 80833028
	v_mfma_i32_16x16x32_i8 v[208:211], a[146:147], v[142:143], v[208:211]// 00000000A780: D3D700D0 0F431D92
	v_mfma_i32_16x16x32_i8 v[212:215], a[144:145], v[164:165], v[212:215]// 00000000A788: D3D700D4 0F534990
	v_mfma_i32_16x16x32_i8 v[212:215], a[146:147], v[166:167], v[212:215]// 00000000A790: D3D700D4 0F534D92
	v_mfma_i32_16x16x32_i8 v[216:219], a[148:149], v[140:141], v[216:219]// 00000000A798: D3D700D8 0F631994
	buffer_load_dwordx4 a[52:55], v41, s[12:15], 0 offen       // 00000000A7A0: E05C1000 80833429
	v_mfma_i32_16x16x32_i8 v[216:219], a[150:151], v[142:143], v[216:219]// 00000000A7A8: D3D700D8 0F631D96
	v_mfma_i32_16x16x32_i8 v[220:223], a[148:149], v[164:165], v[220:223]// 00000000A7B0: D3D700DC 0F734994
	v_mfma_i32_16x16x32_i8 v[220:223], a[150:151], v[166:167], v[220:223]// 00000000A7B8: D3D700DC 0F734D96
	v_mfma_i32_16x16x32_i8 v[224:227], a[152:153], v[140:141], v[224:227]// 00000000A7C0: D3D700E0 0F831998
	buffer_load_dwordx4 a[56:59], v42, s[12:15], 0 offen       // 00000000A7C8: E05C1000 8083382A
	v_mfma_i32_16x16x32_i8 v[224:227], a[154:155], v[142:143], v[224:227]// 00000000A7D0: D3D700E0 0F831D9A
	v_mfma_i32_16x16x32_i8 v[228:231], a[152:153], v[164:165], v[228:231]// 00000000A7D8: D3D700E4 0F934998
	v_mfma_i32_16x16x32_i8 v[228:231], a[154:155], v[166:167], v[228:231]// 00000000A7E0: D3D700E4 0F934D9A
	v_mfma_i32_16x16x32_i8 v[232:235], a[156:157], v[140:141], v[232:235]// 00000000A7E8: D3D700E8 0FA3199C
	buffer_load_dwordx4 a[60:63], v43, s[12:15], 0 offen       // 00000000A7F0: E05C1000 80833C2B
	s_add_u32 s12, s78, s12                                    // 00000000A7F8: 800C0C4E
	s_addc_u32 s13, 0, s13                                     // 00000000A7FC: 820D0D80
	v_mfma_i32_16x16x32_i8 v[232:235], a[158:159], v[142:143], v[232:235]// 00000000A800: D3D700E8 0FA31D9E
	v_mfma_i32_16x16x32_i8 v[236:239], a[156:157], v[164:165], v[236:239]// 00000000A808: D3D700EC 0FB3499C
	v_mfma_i32_16x16x32_i8 v[236:239], a[158:159], v[166:167], v[236:239]// 00000000A810: D3D700EC 0FB34D9E
	s_waitcnt vmcnt(37)                                        // 00000000A818: BF8C8F75
	v_mfma_i32_16x16x32_i8 v[208:211], a[160:161], v[144:145], v[208:211]// 00000000A81C: D3D700D0 0F4321A0
	buffer_load_dwordx4 a[64:67], v40, s[12:15], 0 offen       // 00000000A824: E05C1000 80834028
	v_mfma_i32_16x16x32_i8 v[208:211], a[162:163], v[146:147], v[208:211]// 00000000A82C: D3D700D0 0F4325A2
	v_mfma_i32_16x16x32_i8 v[212:215], a[160:161], v[168:169], v[212:215]// 00000000A834: D3D700D4 0F5351A0
	v_mfma_i32_16x16x32_i8 v[212:215], a[162:163], v[170:171], v[212:215]// 00000000A83C: D3D700D4 0F5355A2
	v_mfma_i32_16x16x32_i8 v[216:219], a[164:165], v[144:145], v[216:219]// 00000000A844: D3D700D8 0F6321A4
	buffer_load_dwordx4 a[68:71], v41, s[12:15], 0 offen       // 00000000A84C: E05C1000 80834429
	v_mfma_i32_16x16x32_i8 v[216:219], a[166:167], v[146:147], v[216:219]// 00000000A854: D3D700D8 0F6325A6
	v_mfma_i32_16x16x32_i8 v[220:223], a[164:165], v[168:169], v[220:223]// 00000000A85C: D3D700DC 0F7351A4
	v_mfma_i32_16x16x32_i8 v[220:223], a[166:167], v[170:171], v[220:223]// 00000000A864: D3D700DC 0F7355A6
	v_mfma_i32_16x16x32_i8 v[224:227], a[168:169], v[144:145], v[224:227]// 00000000A86C: D3D700E0 0F8321A8
	buffer_load_dwordx4 a[72:75], v42, s[12:15], 0 offen       // 00000000A874: E05C1000 8083482A
	v_mfma_i32_16x16x32_i8 v[224:227], a[170:171], v[146:147], v[224:227]// 00000000A87C: D3D700E0 0F8325AA
	v_mfma_i32_16x16x32_i8 v[228:231], a[168:169], v[168:169], v[228:231]// 00000000A884: D3D700E4 0F9351A8
	v_mfma_i32_16x16x32_i8 v[228:231], a[170:171], v[170:171], v[228:231]// 00000000A88C: D3D700E4 0F9355AA
	v_mfma_i32_16x16x32_i8 v[232:235], a[172:173], v[144:145], v[232:235]// 00000000A894: D3D700E8 0FA321AC
	buffer_load_dwordx4 a[76:79], v43, s[12:15], 0 offen       // 00000000A89C: E05C1000 80834C2B
	s_add_u32 s12, s78, s12                                    // 00000000A8A4: 800C0C4E
	s_addc_u32 s13, 0, s13                                     // 00000000A8A8: 820D0D80
	v_mfma_i32_16x16x32_i8 v[232:235], a[174:175], v[146:147], v[232:235]// 00000000A8AC: D3D700E8 0FA325AE
	v_mfma_i32_16x16x32_i8 v[236:239], a[172:173], v[168:169], v[236:239]// 00000000A8B4: D3D700EC 0FB351AC
	v_mfma_i32_16x16x32_i8 v[236:239], a[174:175], v[170:171], v[236:239]// 00000000A8BC: D3D700EC 0FB355AE
	s_waitcnt vmcnt(36)                                        // 00000000A8C4: BF8C8F74
	v_mfma_i32_16x16x32_i8 v[208:211], a[176:177], v[148:149], v[208:211]// 00000000A8C8: D3D700D0 0F4329B0
	buffer_load_dwordx4 a[80:83], v40, s[12:15], 0 offen       // 00000000A8D0: E05C1000 80835028
	v_mfma_i32_16x16x32_i8 v[208:211], a[178:179], v[150:151], v[208:211]// 00000000A8D8: D3D700D0 0F432DB2
	v_mfma_i32_16x16x32_i8 v[212:215], a[176:177], v[172:173], v[212:215]// 00000000A8E0: D3D700D4 0F5359B0
	buffer_load_dword v12, v5, s[16:19], 0 offen               // 00000000A8E8: E0501000 80040C05
	v_mfma_i32_16x16x32_i8 v[212:215], a[178:179], v[174:175], v[212:215]// 00000000A8F0: D3D700D4 0F535DB2
	v_mfma_i32_16x16x32_i8 v[216:219], a[180:181], v[148:149], v[216:219]// 00000000A8F8: D3D700D8 0F6329B4
	buffer_load_dwordx4 a[84:87], v41, s[12:15], 0 offen       // 00000000A900: E05C1000 80835429
	v_mfma_i32_16x16x32_i8 v[216:219], a[182:183], v[150:151], v[216:219]// 00000000A908: D3D700D8 0F632DB6
	v_mfma_i32_16x16x32_i8 v[220:223], a[180:181], v[172:173], v[220:223]// 00000000A910: D3D700DC 0F7359B4
	v_mfma_i32_16x16x32_i8 v[220:223], a[182:183], v[174:175], v[220:223]// 00000000A918: D3D700DC 0F735DB6
	v_mfma_i32_16x16x32_i8 v[224:227], a[184:185], v[148:149], v[224:227]// 00000000A920: D3D700E0 0F8329B8
	buffer_load_dwordx4 a[88:91], v42, s[12:15], 0 offen       // 00000000A928: E05C1000 8083582A
	v_mfma_i32_16x16x32_i8 v[224:227], a[186:187], v[150:151], v[224:227]// 00000000A930: D3D700E0 0F832DBA
	v_mfma_i32_16x16x32_i8 v[228:231], a[184:185], v[172:173], v[228:231]// 00000000A938: D3D700E4 0F9359B8
	v_mfma_i32_16x16x32_i8 v[228:231], a[186:187], v[174:175], v[228:231]// 00000000A940: D3D700E4 0F935DBA
	v_mfma_i32_16x16x32_i8 v[232:235], a[188:189], v[148:149], v[232:235]// 00000000A948: D3D700E8 0FA329BC
	buffer_load_dwordx4 a[92:95], v43, s[12:15], 0 offen       // 00000000A950: E05C1000 80835C2B
	v_mfma_i32_16x16x32_i8 v[232:235], a[190:191], v[150:151], v[232:235]// 00000000A958: D3D700E8 0FA32DBE
	v_mfma_i32_16x16x32_i8 v[236:239], a[188:189], v[172:173], v[236:239]// 00000000A960: D3D700EC 0FB359BC
	v_mfma_i32_16x16x32_i8 v[236:239], a[190:191], v[174:175], v[236:239]// 00000000A968: D3D700EC 0FB35DBE
	s_add_u32 s60, 0x200, s80                                  // 00000000A970: 803C50FF 00000200
	s_cmp_lt_u32 s60, s81                                      // 00000000A978: BF0A513C
	s_cselect_b32 s56, s56, 0                                  // 00000000A97C: 85388038
	s_cselect_b32 s78, s78, 0                                  // 00000000A980: 854E804E
	s_cselect_b32 s79, s79, 0                                  // 00000000A984: 854F804F
	s_add_u32 s12, s56, s12                                    // 00000000A988: 800C0C38
	s_addc_u32 s13, 0, s13                                     // 00000000A98C: 820D0D80
	s_add_u32 s16, s79, s16                                    // 00000000A990: 8010104F
	s_addc_u32 s17, 0, s17                                     // 00000000A994: 82111180
	v_cvt_f32_i32_e32 v208, v208                               // 00000000A998: 7FA00BD0
	v_cvt_f32_i32_e32 v209, v209                               // 00000000A99C: 7FA20BD1
	v_cvt_f32_i32_e32 v210, v210                               // 00000000A9A0: 7FA40BD2
	v_cvt_f32_i32_e32 v211, v211                               // 00000000A9A4: 7FA60BD3
	v_mul_f32_e32 v208, v24, v208                              // 00000000A9A8: 0BA1A118
	v_mul_f32_e32 v209, v24, v209                              // 00000000A9AC: 0BA3A318
	v_mul_f32_e32 v210, v24, v210                              // 00000000A9B0: 0BA5A518
	v_mul_f32_e32 v211, v24, v211                              // 00000000A9B4: 0BA7A718
	v_mul_f32_dpp v208, v13, v208 row_newbcast:0 row_mask:0xf bank_mask:0xf// 00000000A9B8: 0BA1A0FA FF01500D
	v_mul_f32_dpp v209, v13, v209 row_newbcast:1 row_mask:0xf bank_mask:0xf// 00000000A9C0: 0BA3A2FA FF01510D
	v_mul_f32_dpp v210, v13, v210 row_newbcast:2 row_mask:0xf bank_mask:0xf// 00000000A9C8: 0BA5A4FA FF01520D
	v_mul_f32_dpp v211, v13, v211 row_newbcast:3 row_mask:0xf bank_mask:0xf// 00000000A9D0: 0BA7A6FA FF01530D
	v_mul_f32_e32 v208, v20, v208                              // 00000000A9D8: 0BA1A114
	v_mul_f32_e32 v209, v20, v209                              // 00000000A9DC: 0BA3A314
	v_mul_f32_e32 v210, v20, v210                              // 00000000A9E0: 0BA5A514
	v_mul_f32_e32 v211, v20, v211                              // 00000000A9E4: 0BA7A714
	v_cvt_f32_i32_e32 v212, v212                               // 00000000A9E8: 7FA80BD4
	v_cvt_f32_i32_e32 v213, v213                               // 00000000A9EC: 7FAA0BD5
	v_cvt_f32_i32_e32 v214, v214                               // 00000000A9F0: 7FAC0BD6
	v_cvt_f32_i32_e32 v215, v215                               // 00000000A9F4: 7FAE0BD7
	v_mul_f32_e32 v212, v25, v212                              // 00000000A9F8: 0BA9A919
	v_mul_f32_e32 v213, v25, v213                              // 00000000A9FC: 0BABAB19
	v_mul_f32_e32 v214, v25, v214                              // 00000000AA00: 0BADAD19
	v_mul_f32_e32 v215, v25, v215                              // 00000000AA04: 0BAFAF19
	v_mul_f32_dpp v212, v13, v212 row_newbcast:0 row_mask:0xf bank_mask:0xf// 00000000AA08: 0BA9A8FA FF01500D
	v_mul_f32_dpp v213, v13, v213 row_newbcast:1 row_mask:0xf bank_mask:0xf// 00000000AA10: 0BABAAFA FF01510D
	v_mul_f32_dpp v214, v13, v214 row_newbcast:2 row_mask:0xf bank_mask:0xf// 00000000AA18: 0BADACFA FF01520D
	v_mul_f32_dpp v215, v13, v215 row_newbcast:3 row_mask:0xf bank_mask:0xf// 00000000AA20: 0BAFAEFA FF01530D
	v_mul_f32_e32 v212, v21, v212                              // 00000000AA28: 0BA9A915
	v_mul_f32_e32 v213, v21, v213                              // 00000000AA2C: 0BABAB15
	v_mul_f32_e32 v214, v21, v214                              // 00000000AA30: 0BADAD15
	v_mul_f32_e32 v215, v21, v215                              // 00000000AA34: 0BAFAF15
	v_cvt_f32_i32_e32 v216, v216                               // 00000000AA38: 7FB00BD8
	v_cvt_f32_i32_e32 v217, v217                               // 00000000AA3C: 7FB20BD9
	v_cvt_f32_i32_e32 v218, v218                               // 00000000AA40: 7FB40BDA
	v_cvt_f32_i32_e32 v219, v219                               // 00000000AA44: 7FB60BDB
	v_mul_f32_e32 v216, v24, v216                              // 00000000AA48: 0BB1B118
	v_mul_f32_e32 v217, v24, v217                              // 00000000AA4C: 0BB3B318
	v_mul_f32_e32 v218, v24, v218                              // 00000000AA50: 0BB5B518
	v_mul_f32_e32 v219, v24, v219                              // 00000000AA54: 0BB7B718
	v_mul_f32_dpp v216, v13, v216 row_newbcast:4 row_mask:0xf bank_mask:0xf// 00000000AA58: 0BB1B0FA FF01540D
	v_mul_f32_dpp v217, v13, v217 row_newbcast:5 row_mask:0xf bank_mask:0xf// 00000000AA60: 0BB3B2FA FF01550D
	v_mul_f32_dpp v218, v13, v218 row_newbcast:6 row_mask:0xf bank_mask:0xf// 00000000AA68: 0BB5B4FA FF01560D
	v_mul_f32_dpp v219, v13, v219 row_newbcast:7 row_mask:0xf bank_mask:0xf// 00000000AA70: 0BB7B6FA FF01570D
	v_mul_f32_e32 v216, v20, v216                              // 00000000AA78: 0BB1B114
	v_mul_f32_e32 v217, v20, v217                              // 00000000AA7C: 0BB3B314
	v_mul_f32_e32 v218, v20, v218                              // 00000000AA80: 0BB5B514
	v_mul_f32_e32 v219, v20, v219                              // 00000000AA84: 0BB7B714
	v_cvt_f32_i32_e32 v220, v220                               // 00000000AA88: 7FB80BDC
	v_cvt_f32_i32_e32 v221, v221                               // 00000000AA8C: 7FBA0BDD
	v_cvt_f32_i32_e32 v222, v222                               // 00000000AA90: 7FBC0BDE
	v_cvt_f32_i32_e32 v223, v223                               // 00000000AA94: 7FBE0BDF
	v_mul_f32_e32 v220, v25, v220                              // 00000000AA98: 0BB9B919
	v_mul_f32_e32 v221, v25, v221                              // 00000000AA9C: 0BBBBB19
	v_mul_f32_e32 v222, v25, v222                              // 00000000AAA0: 0BBDBD19
	v_mul_f32_e32 v223, v25, v223                              // 00000000AAA4: 0BBFBF19
	v_mul_f32_dpp v220, v13, v220 row_newbcast:4 row_mask:0xf bank_mask:0xf// 00000000AAA8: 0BB9B8FA FF01540D
	v_mul_f32_dpp v221, v13, v221 row_newbcast:5 row_mask:0xf bank_mask:0xf// 00000000AAB0: 0BBBBAFA FF01550D
	v_mul_f32_dpp v222, v13, v222 row_newbcast:6 row_mask:0xf bank_mask:0xf// 00000000AAB8: 0BBDBCFA FF01560D
	v_mul_f32_dpp v223, v13, v223 row_newbcast:7 row_mask:0xf bank_mask:0xf// 00000000AAC0: 0BBFBEFA FF01570D
	v_mul_f32_e32 v220, v21, v220                              // 00000000AAC8: 0BB9B915
	v_mul_f32_e32 v221, v21, v221                              // 00000000AACC: 0BBBBB15
	v_mul_f32_e32 v222, v21, v222                              // 00000000AAD0: 0BBDBD15
	v_mul_f32_e32 v223, v21, v223                              // 00000000AAD4: 0BBFBF15
	v_cvt_f32_i32_e32 v224, v224                               // 00000000AAD8: 7FC00BE0
	v_cvt_f32_i32_e32 v225, v225                               // 00000000AADC: 7FC20BE1
	v_cvt_f32_i32_e32 v226, v226                               // 00000000AAE0: 7FC40BE2
	v_cvt_f32_i32_e32 v227, v227                               // 00000000AAE4: 7FC60BE3
	v_mul_f32_e32 v224, v24, v224                              // 00000000AAE8: 0BC1C118
	v_mul_f32_e32 v225, v24, v225                              // 00000000AAEC: 0BC3C318
	v_mul_f32_e32 v226, v24, v226                              // 00000000AAF0: 0BC5C518
	v_mul_f32_e32 v227, v24, v227                              // 00000000AAF4: 0BC7C718
	v_mul_f32_dpp v224, v13, v224 row_newbcast:8 row_mask:0xf bank_mask:0xf// 00000000AAF8: 0BC1C0FA FF01580D
	v_mul_f32_dpp v225, v13, v225 row_newbcast:9 row_mask:0xf bank_mask:0xf// 00000000AB00: 0BC3C2FA FF01590D
	v_mul_f32_dpp v226, v13, v226 row_newbcast:10 row_mask:0xf bank_mask:0xf// 00000000AB08: 0BC5C4FA FF015A0D
	v_mul_f32_dpp v227, v13, v227 row_newbcast:11 row_mask:0xf bank_mask:0xf// 00000000AB10: 0BC7C6FA FF015B0D
	v_mul_f32_e32 v224, v20, v224                              // 00000000AB18: 0BC1C114
	v_mul_f32_e32 v225, v20, v225                              // 00000000AB1C: 0BC3C314
	v_mul_f32_e32 v226, v20, v226                              // 00000000AB20: 0BC5C514
	v_mul_f32_e32 v227, v20, v227                              // 00000000AB24: 0BC7C714
	v_cvt_f32_i32_e32 v228, v228                               // 00000000AB28: 7FC80BE4
	v_cvt_f32_i32_e32 v229, v229                               // 00000000AB2C: 7FCA0BE5
	v_cvt_f32_i32_e32 v230, v230                               // 00000000AB30: 7FCC0BE6
	v_cvt_f32_i32_e32 v231, v231                               // 00000000AB34: 7FCE0BE7
	v_mul_f32_e32 v228, v25, v228                              // 00000000AB38: 0BC9C919
	v_mul_f32_e32 v229, v25, v229                              // 00000000AB3C: 0BCBCB19
	v_mul_f32_e32 v230, v25, v230                              // 00000000AB40: 0BCDCD19
	v_mul_f32_e32 v231, v25, v231                              // 00000000AB44: 0BCFCF19
	v_mul_f32_dpp v228, v13, v228 row_newbcast:8 row_mask:0xf bank_mask:0xf// 00000000AB48: 0BC9C8FA FF01580D
	v_mul_f32_dpp v229, v13, v229 row_newbcast:9 row_mask:0xf bank_mask:0xf// 00000000AB50: 0BCBCAFA FF01590D
	v_mul_f32_dpp v230, v13, v230 row_newbcast:10 row_mask:0xf bank_mask:0xf// 00000000AB58: 0BCDCCFA FF015A0D
	v_mul_f32_dpp v231, v13, v231 row_newbcast:11 row_mask:0xf bank_mask:0xf// 00000000AB60: 0BCFCEFA FF015B0D
	v_mul_f32_e32 v228, v21, v228                              // 00000000AB68: 0BC9C915
	v_mul_f32_e32 v229, v21, v229                              // 00000000AB6C: 0BCBCB15
	v_mul_f32_e32 v230, v21, v230                              // 00000000AB70: 0BCDCD15
	v_mul_f32_e32 v231, v21, v231                              // 00000000AB74: 0BCFCF15
	v_cvt_f32_i32_e32 v232, v232                               // 00000000AB78: 7FD00BE8
	v_cvt_f32_i32_e32 v233, v233                               // 00000000AB7C: 7FD20BE9
	v_cvt_f32_i32_e32 v234, v234                               // 00000000AB80: 7FD40BEA
	v_cvt_f32_i32_e32 v235, v235                               // 00000000AB84: 7FD60BEB
	v_mul_f32_e32 v232, v24, v232                              // 00000000AB88: 0BD1D118
	v_mul_f32_e32 v233, v24, v233                              // 00000000AB8C: 0BD3D318
	v_mul_f32_e32 v234, v24, v234                              // 00000000AB90: 0BD5D518
	v_mul_f32_e32 v235, v24, v235                              // 00000000AB94: 0BD7D718
	v_mul_f32_dpp v232, v13, v232 row_newbcast:12 row_mask:0xf bank_mask:0xf// 00000000AB98: 0BD1D0FA FF015C0D
	v_mul_f32_dpp v233, v13, v233 row_newbcast:13 row_mask:0xf bank_mask:0xf// 00000000ABA0: 0BD3D2FA FF015D0D
	v_mul_f32_dpp v234, v13, v234 row_newbcast:14 row_mask:0xf bank_mask:0xf// 00000000ABA8: 0BD5D4FA FF015E0D
	v_mul_f32_dpp v235, v13, v235 row_newbcast:15 row_mask:0xf bank_mask:0xf// 00000000ABB0: 0BD7D6FA FF015F0D
	v_mul_f32_e32 v232, v20, v232                              // 00000000ABB8: 0BD1D114
	v_mul_f32_e32 v233, v20, v233                              // 00000000ABBC: 0BD3D314
	v_mul_f32_e32 v234, v20, v234                              // 00000000ABC0: 0BD5D514
	v_mul_f32_e32 v235, v20, v235                              // 00000000ABC4: 0BD7D714
	v_cvt_f32_i32_e32 v236, v236                               // 00000000ABC8: 7FD80BEC
	v_cvt_f32_i32_e32 v237, v237                               // 00000000ABCC: 7FDA0BED
	v_cvt_f32_i32_e32 v238, v238                               // 00000000ABD0: 7FDC0BEE
	v_cvt_f32_i32_e32 v239, v239                               // 00000000ABD4: 7FDE0BEF
	v_mul_f32_e32 v236, v25, v236                              // 00000000ABD8: 0BD9D919
	v_mul_f32_e32 v237, v25, v237                              // 00000000ABDC: 0BDBDB19
	v_mul_f32_e32 v238, v25, v238                              // 00000000ABE0: 0BDDDD19
	v_mul_f32_e32 v239, v25, v239                              // 00000000ABE4: 0BDFDF19
	v_mul_f32_dpp v236, v13, v236 row_newbcast:12 row_mask:0xf bank_mask:0xf// 00000000ABE8: 0BD9D8FA FF015C0D
	v_mul_f32_dpp v237, v13, v237 row_newbcast:13 row_mask:0xf bank_mask:0xf// 00000000ABF0: 0BDBDAFA FF015D0D
	v_mul_f32_dpp v238, v13, v238 row_newbcast:14 row_mask:0xf bank_mask:0xf// 00000000ABF8: 0BDDDCFA FF015E0D
	v_mul_f32_dpp v239, v13, v239 row_newbcast:15 row_mask:0xf bank_mask:0xf// 00000000AC00: 0BDFDEFA FF015F0D
	v_mul_f32_e32 v236, v21, v236                              // 00000000AC08: 0BD9D915
	v_mul_f32_e32 v237, v21, v237                              // 00000000AC0C: 0BDBDB15
	v_mul_f32_e32 v238, v21, v238                              // 00000000AC10: 0BDDDD15
	v_mul_f32_e32 v239, v21, v239                              // 00000000AC14: 0BDFDF15
	v_cvt_pkrtz_f16_f32 v208, v208, v209                       // 00000000AC18: D29600D0 0003A3D0
	v_cvt_pkrtz_f16_f32 v209, v210, v211                       // 00000000AC20: D29600D1 0003A7D2
	v_cvt_pkrtz_f16_f32 v210, v212, v213                       // 00000000AC28: D29600D2 0003ABD4
	v_cvt_pkrtz_f16_f32 v211, v214, v215                       // 00000000AC30: D29600D3 0003AFD6
	v_cvt_pkrtz_f16_f32 v212, v216, v217                       // 00000000AC38: D29600D4 0003B3D8
	v_cvt_pkrtz_f16_f32 v213, v218, v219                       // 00000000AC40: D29600D5 0003B7DA
	v_cvt_pkrtz_f16_f32 v214, v220, v221                       // 00000000AC48: D29600D6 0003BBDC
	v_cvt_pkrtz_f16_f32 v215, v222, v223                       // 00000000AC50: D29600D7 0003BFDE
	v_cvt_pkrtz_f16_f32 v216, v224, v225                       // 00000000AC58: D29600D8 0003C3E0
	v_cvt_pkrtz_f16_f32 v217, v226, v227                       // 00000000AC60: D29600D9 0003C7E2
	v_cvt_pkrtz_f16_f32 v218, v228, v229                       // 00000000AC68: D29600DA 0003CBE4
	v_cvt_pkrtz_f16_f32 v219, v230, v231                       // 00000000AC70: D29600DB 0003CFE6
	v_cvt_pkrtz_f16_f32 v220, v232, v233                       // 00000000AC78: D29600DC 0003D3E8
	v_cvt_pkrtz_f16_f32 v221, v234, v235                       // 00000000AC80: D29600DD 0003D7EA
	v_cvt_pkrtz_f16_f32 v222, v236, v237                       // 00000000AC88: D29600DE 0003DBEC
	v_cvt_pkrtz_f16_f32 v223, v238, v239                       // 00000000AC90: D29600DF 0003DFEE
	ds_write_b64 v3, v[208:209] offset:30976                   // 00000000AC98: D89A7900 0000D003
	ds_write_b64 v3, v[210:211] offset:39680                   // 00000000ACA0: D89A9B00 0000D203
	ds_write_b64 v3, v[212:213] offset:33152                   // 00000000ACA8: D89A8180 0000D403
	ds_write_b64 v3, v[214:215] offset:41856                   // 00000000ACB0: D89AA380 0000D603
	ds_write_b64 v3, v[216:217] offset:35328                   // 00000000ACB8: D89A8A00 0000D803
	ds_write_b64 v3, v[218:219] offset:44032                   // 00000000ACC0: D89AAC00 0000DA03
	ds_write_b64 v3, v[220:221] offset:37504                   // 00000000ACC8: D89A9280 0000DC03
	ds_write_b64 v3, v[222:223] offset:46208                   // 00000000ACD0: D89AB480 0000DE03
	s_waitcnt lgkmcnt(0)                                       // 00000000ACD8: BF8CC07F
	s_barrier                                                  // 00000000ACDC: BF8A0000
	ds_read_b32 v64, v4 offset:30976                           // 00000000ACE0: D86C7900 40000004
	ds_read_b32 v65, v4 offset:35328                           // 00000000ACE8: D86C8A00 41000004
	ds_read_b32 v66, v4 offset:31008                           // 00000000ACF0: D86C7920 42000004
	ds_read_b32 v67, v4 offset:35360                           // 00000000ACF8: D86C8A20 43000004
	ds_read_b32 v68, v4 offset:31040                           // 00000000AD00: D86C7940 44000004
	ds_read_b32 v69, v4 offset:35392                           // 00000000AD08: D86C8A40 45000004
	ds_read_b32 v70, v4 offset:31072                           // 00000000AD10: D86C7960 46000004
	ds_read_b32 v71, v4 offset:35424                           // 00000000AD18: D86C8A60 47000004
	ds_read_b32 v72, v4 offset:39680                           // 00000000AD20: D86C9B00 48000004
	ds_read_b32 v73, v4 offset:44032                           // 00000000AD28: D86CAC00 49000004
	ds_read_b32 v74, v4 offset:39712                           // 00000000AD30: D86C9B20 4A000004
	ds_read_b32 v75, v4 offset:44064                           // 00000000AD38: D86CAC20 4B000004
	ds_read_b32 v76, v4 offset:39744                           // 00000000AD40: D86C9B40 4C000004
	ds_read_b32 v77, v4 offset:44096                           // 00000000AD48: D86CAC40 4D000004
	ds_read_b32 v78, v4 offset:39776                           // 00000000AD50: D86C9B60 4E000004
	ds_read_b32 v79, v4 offset:44128                           // 00000000AD58: D86CAC60 4F000004
	s_waitcnt lgkmcnt(0)                                       // 00000000AD60: BF8CC07F
	s_mov_b64 exec, s[20:21]                                   // 00000000AD64: BEFE0114
	global_atomic_pk_add_f16 v80, v64, s[8:9]                  // 00000000AD68: DD388000 00084050
	s_mov_b64 exec, s[36:37]                                   // 00000000AD70: BEFE0124
	s_mov_b64 exec, s[20:21]                                   // 00000000AD74: BEFE0114
	global_atomic_pk_add_f16 v80, v65, s[8:9] offset:256       // 00000000AD78: DD388100 00084150
	s_mov_b64 exec, s[36:37]                                   // 00000000AD80: BEFE0124
	s_mov_b64 exec, s[22:23]                                   // 00000000AD84: BEFE0116
	global_atomic_pk_add_f16 v82, v66, s[8:9]                  // 00000000AD88: DD388000 00084252
	s_mov_b64 exec, s[36:37]                                   // 00000000AD90: BEFE0124
	s_mov_b64 exec, s[22:23]                                   // 00000000AD94: BEFE0116
	global_atomic_pk_add_f16 v82, v67, s[8:9] offset:256       // 00000000AD98: DD388100 00084352
	s_mov_b64 exec, s[36:37]                                   // 00000000ADA0: BEFE0124
	s_mov_b64 exec, s[24:25]                                   // 00000000ADA4: BEFE0118
	global_atomic_pk_add_f16 v84, v68, s[8:9]                  // 00000000ADA8: DD388000 00084454
	s_mov_b64 exec, s[36:37]                                   // 00000000ADB0: BEFE0124
	s_mov_b64 exec, s[24:25]                                   // 00000000ADB4: BEFE0118
	global_atomic_pk_add_f16 v84, v69, s[8:9] offset:256       // 00000000ADB8: DD388100 00084554
	s_mov_b64 exec, s[36:37]                                   // 00000000ADC0: BEFE0124
	s_mov_b64 exec, s[26:27]                                   // 00000000ADC4: BEFE011A
	global_atomic_pk_add_f16 v86, v70, s[8:9]                  // 00000000ADC8: DD388000 00084656
	s_mov_b64 exec, s[36:37]                                   // 00000000ADD0: BEFE0124
	s_mov_b64 exec, s[26:27]                                   // 00000000ADD4: BEFE011A
	global_atomic_pk_add_f16 v86, v71, s[8:9] offset:256       // 00000000ADD8: DD388100 00084756
	s_mov_b64 exec, s[36:37]                                   // 00000000ADE0: BEFE0124
	s_mov_b64 exec, s[28:29]                                   // 00000000ADE4: BEFE011C
	global_atomic_pk_add_f16 v88, v72, s[8:9]                  // 00000000ADE8: DD388000 00084858
	s_mov_b64 exec, s[36:37]                                   // 00000000ADF0: BEFE0124
	s_mov_b64 exec, s[28:29]                                   // 00000000ADF4: BEFE011C
	global_atomic_pk_add_f16 v88, v73, s[8:9] offset:256       // 00000000ADF8: DD388100 00084958
	s_mov_b64 exec, s[36:37]                                   // 00000000AE00: BEFE0124
	s_mov_b64 exec, s[30:31]                                   // 00000000AE04: BEFE011E
	global_atomic_pk_add_f16 v90, v74, s[8:9]                  // 00000000AE08: DD388000 00084A5A
	s_mov_b64 exec, s[36:37]                                   // 00000000AE10: BEFE0124
	s_mov_b64 exec, s[30:31]                                   // 00000000AE14: BEFE011E
	global_atomic_pk_add_f16 v90, v75, s[8:9] offset:256       // 00000000AE18: DD388100 00084B5A
	s_mov_b64 exec, s[36:37]                                   // 00000000AE20: BEFE0124
	s_mov_b64 exec, s[32:33]                                   // 00000000AE24: BEFE0120
	global_atomic_pk_add_f16 v92, v76, s[8:9]                  // 00000000AE28: DD388000 00084C5C
	s_mov_b64 exec, s[36:37]                                   // 00000000AE30: BEFE0124
	s_mov_b64 exec, s[32:33]                                   // 00000000AE34: BEFE0120
	global_atomic_pk_add_f16 v92, v77, s[8:9] offset:256       // 00000000AE38: DD388100 00084D5C
	s_mov_b64 exec, s[36:37]                                   // 00000000AE40: BEFE0124
	s_mov_b64 exec, s[34:35]                                   // 00000000AE44: BEFE0122
	global_atomic_pk_add_f16 v94, v78, s[8:9]                  // 00000000AE48: DD388000 00084E5E
	s_mov_b64 exec, s[36:37]                                   // 00000000AE50: BEFE0124
	s_mov_b64 exec, s[34:35]                                   // 00000000AE54: BEFE0122
	global_atomic_pk_add_f16 v94, v79, s[8:9] offset:256       // 00000000AE58: DD388100 00084F5E
	s_mov_b64 exec, s[36:37]                                   // 00000000AE60: BEFE0124
	s_add_u32 s8, s59, s8                                      // 00000000AE64: 8008083B
	s_addc_u32 s9, 0, s9                                       // 00000000AE68: 82090980
	s_addk_i32 s80, 0x100                                      // 00000000AE6C: B7500100
	s_cmp_lt_i32 s80, s81                                      // 00000000AE70: BF045150
	s_cbranch_scc0 label_1170                                  // 00000000AE74: BF84F152
	s_branch label_1B94                                        // 00000000AE78: BF82FB75

000000000000ae7c <label_201F>:
	s_waitcnt vmcnt(0) expcnt(0) lgkmcnt(0)                    // 00000000AE7C: BF8C0000
	s_add_u32 s100, s100, 1                                    // 00000000AE80: 80648164
	s_cmp_eq_u32 s96, 0                                        // 00000000AE84: BF068060
	s_cbranch_scc0 label_0039                                  // 00000000AE88: BF84E016

000000000000ae8c <label_2023>:
	s_waitcnt vmcnt(0) expcnt(0) lgkmcnt(0)                    // 00000000AE8C: BF8C0000
	s_endpgm                                                   // 00000000AE90: BF810000
